;; amdgpu-corpus repo=ROCm/rocFFT kind=compiled arch=gfx906 opt=O3
	.text
	.amdgcn_target "amdgcn-amd-amdhsa--gfx906"
	.amdhsa_code_object_version 6
	.protected	bluestein_single_fwd_len1920_dim1_half_op_CI_CI ; -- Begin function bluestein_single_fwd_len1920_dim1_half_op_CI_CI
	.globl	bluestein_single_fwd_len1920_dim1_half_op_CI_CI
	.p2align	8
	.type	bluestein_single_fwd_len1920_dim1_half_op_CI_CI,@function
bluestein_single_fwd_len1920_dim1_half_op_CI_CI: ; @bluestein_single_fwd_len1920_dim1_half_op_CI_CI
; %bb.0:
	s_load_dwordx4 s[8:11], s[4:5], 0x28
	v_mul_u32_u24_e32 v1, 0x223, v0
	v_lshrrev_b32_e32 v4, 16, v1
	v_lshl_add_u32 v29, s6, 1, v4
	v_mov_b32_e32 v30, 0
	s_waitcnt lgkmcnt(0)
	v_cmp_gt_u64_e32 vcc, s[8:9], v[29:30]
	s_and_saveexec_b64 s[0:1], vcc
	s_cbranch_execz .LBB0_23
; %bb.1:
	s_load_dwordx4 s[0:3], s[4:5], 0x18
	v_mul_lo_u16_e32 v1, 0x78, v4
	v_sub_u16_e32 v60, v0, v1
	v_lshlrev_b32_e32 v16, 2, v60
	v_or_b32_e32 v58, 0x180, v60
	s_waitcnt lgkmcnt(0)
	s_load_dwordx4 s[12:15], s[0:1], 0x0
	v_or_b32_e32 v55, 0x300, v60
	v_or_b32_e32 v52, 0x480, v60
	;; [unrolled: 1-line block ×3, first 2 shown]
	v_lshlrev_b32_e32 v40, 2, v52
	s_waitcnt lgkmcnt(0)
	v_mad_u64_u32 v[0:1], s[0:1], s14, v29, 0
	v_mad_u64_u32 v[2:3], s[0:1], s12, v60, 0
	s_movk_i32 s8, 0x1000
	v_lshlrev_b32_e32 v44, 2, v50
	v_mad_u64_u32 v[5:6], s[0:1], s15, v29, v[1:2]
	v_mad_u64_u32 v[6:7], s[0:1], s13, v60, v[3:4]
	v_mov_b32_e32 v1, v5
	v_lshlrev_b64 v[0:1], 2, v[0:1]
	s_load_dwordx2 s[14:15], s[4:5], 0x0
	v_mov_b32_e32 v7, s11
	v_mov_b32_e32 v3, v6
	v_add_co_u32_e32 v14, vcc, s10, v0
	v_addc_co_u32_e32 v15, vcc, v7, v1, vcc
	v_lshlrev_b64 v[0:1], 2, v[2:3]
	s_waitcnt lgkmcnt(0)
	v_mov_b32_e32 v2, s15
	v_add_co_u32_e32 v0, vcc, v14, v0
	v_addc_co_u32_e32 v1, vcc, v15, v1, vcc
	v_add_co_u32_e32 v27, vcc, s14, v16
	v_addc_co_u32_e32 v28, vcc, 0, v2, vcc
	v_mad_u64_u32 v[2:3], s[6:7], s12, v58, 0
	s_mul_i32 s0, s13, 0xc0
	s_mul_hi_u32 s1, s12, 0xc0
	s_add_i32 s1, s1, s0
	s_mul_i32 s0, s12, 0xc0
	s_lshl_b64 s[16:17], s[0:1], 2
	v_mad_u64_u32 v[5:6], s[0:1], s13, v58, v[3:4]
	v_mov_b32_e32 v7, s17
	v_add_co_u32_e32 v6, vcc, s16, v0
	v_mov_b32_e32 v3, v5
	v_lshlrev_b64 v[2:3], 2, v[2:3]
	s_mul_i32 s0, s13, 0x600
	s_mul_hi_u32 s1, s12, 0x600
	v_addc_co_u32_e32 v7, vcc, v1, v7, vcc
	s_add_i32 s6, s1, s0
	v_mad_u64_u32 v[8:9], s[0:1], s12, v55, 0
	v_add_co_u32_e32 v2, vcc, v14, v2
	v_addc_co_u32_e32 v3, vcc, v15, v3, vcc
	s_mul_i32 s7, s12, 0x600
	v_mov_b32_e32 v5, s6
	v_add_co_u32_e32 v10, vcc, s7, v6
	v_addc_co_u32_e32 v11, vcc, v7, v5, vcc
	v_mov_b32_e32 v5, v9
	v_mad_u64_u32 v[12:13], s[0:1], s13, v55, v[5:6]
	global_load_dword v63, v16, s[14:15]
	global_load_dword v62, v16, s[14:15] offset:768
	global_load_dword v13, v[0:1], off
	global_load_dword v17, v[6:7], off
	;; [unrolled: 1-line block ×4, first 2 shown]
	v_mad_u64_u32 v[2:3], s[0:1], s12, v52, 0
	v_mov_b32_e32 v9, v12
	v_lshlrev_b64 v[0:1], 2, v[8:9]
	v_mad_u64_u32 v[7:8], s[0:1], s13, v52, v[3:4]
	v_add_co_u32_e32 v0, vcc, v14, v0
	v_addc_co_u32_e32 v1, vcc, v15, v1, vcc
	v_mov_b32_e32 v3, v7
	v_mov_b32_e32 v6, s6
	v_add_co_u32_e32 v5, vcc, s7, v10
	global_load_dword v61, v16, s[14:15] offset:1536
	global_load_dword v59, v16, s[14:15] offset:2304
	;; [unrolled: 1-line block ×4, first 2 shown]
	v_lshlrev_b64 v[2:3], 2, v[2:3]
	v_addc_co_u32_e32 v6, vcc, v11, v6, vcc
	v_add_co_u32_e32 v2, vcc, v14, v2
	v_addc_co_u32_e32 v3, vcc, v15, v3, vcc
	global_load_dword v9, v[0:1], off
	global_load_dword v10, v[5:6], off
	;; [unrolled: 1-line block ×3, first 2 shown]
	v_mad_u64_u32 v[2:3], s[0:1], s12, v50, 0
	v_mov_b32_e32 v0, s6
	v_add_co_u32_e32 v5, vcc, s7, v5
	v_addc_co_u32_e32 v6, vcc, v6, v0, vcc
	v_mov_b32_e32 v0, v3
	v_mad_u64_u32 v[7:8], s[0:1], s13, v50, v[0:1]
	global_load_dword v54, v40, s[14:15]
	global_load_dword v51, v44, s[14:15]
	v_mov_b32_e32 v3, v7
	v_add_co_u32_e32 v0, vcc, s8, v27
	v_lshlrev_b64 v[2:3], 2, v[2:3]
	global_load_dword v12, v[5:6], off
	v_addc_co_u32_e32 v1, vcc, 0, v28, vcc
	global_load_dword v53, v[0:1], off offset:1280
	v_add_co_u32_e32 v2, vcc, v14, v2
	v_addc_co_u32_e32 v3, vcc, v15, v3, vcc
	global_load_dword v7, v[2:3], off
	v_mov_b32_e32 v3, s6
	v_add_co_u32_e32 v2, vcc, s7, v5
	v_addc_co_u32_e32 v3, vcc, v6, v3, vcc
	global_load_dword v5, v[2:3], off
	global_load_dword v49, v[0:1], off offset:2816
	v_and_b32_e32 v4, 1, v4
	v_mov_b32_e32 v6, 0x780
	v_cmp_eq_u32_e32 vcc, 1, v4
	v_cndmask_b32_e32 v65, 0, v6, vcc
	v_or_b32_e32 v8, v65, v60
	v_lshlrev_b32_e32 v64, 2, v8
	s_load_dwordx2 s[6:7], s[4:5], 0x38
	s_load_dwordx4 s[8:11], s[2:3], 0x0
	v_lshl_add_u32 v48, v65, 2, v16
	s_movk_i32 s0, 0x48
	v_cmp_gt_u16_e64 s[0:1], s0, v60
	s_waitcnt vmcnt(17)
	v_lshrrev_b32_e32 v4, 16, v13
	v_mul_f16_sdwa v6, v63, v4 dst_sel:DWORD dst_unused:UNUSED_PAD src0_sel:WORD_1 src1_sel:DWORD
	v_mul_f16_sdwa v8, v63, v13 dst_sel:DWORD dst_unused:UNUSED_PAD src0_sel:WORD_1 src1_sel:DWORD
	v_fma_f16 v6, v63, v13, v6
	v_fma_f16 v4, v63, v4, -v8
	v_pack_b32_f16 v4, v6, v4
	ds_write_b32 v64, v4
	s_waitcnt vmcnt(16)
	v_lshrrev_b32_e32 v4, 16, v17
	v_mul_f16_sdwa v6, v62, v4 dst_sel:DWORD dst_unused:UNUSED_PAD src0_sel:WORD_1 src1_sel:DWORD
	v_mul_f16_sdwa v8, v62, v17 dst_sel:DWORD dst_unused:UNUSED_PAD src0_sel:WORD_1 src1_sel:DWORD
	v_fma_f16 v6, v62, v17, v6
	v_fma_f16 v4, v62, v4, -v8
	v_pack_b32_f16 v4, v6, v4
	s_waitcnt vmcnt(15)
	v_lshrrev_b32_e32 v6, 16, v18
	s_waitcnt vmcnt(13)
	v_mul_f16_sdwa v8, v61, v6 dst_sel:DWORD dst_unused:UNUSED_PAD src0_sel:WORD_1 src1_sel:DWORD
	v_mul_f16_sdwa v13, v61, v18 dst_sel:DWORD dst_unused:UNUSED_PAD src0_sel:WORD_1 src1_sel:DWORD
	v_fma_f16 v8, v61, v18, v8
	v_fma_f16 v6, v61, v6, -v13
	v_pack_b32_f16 v6, v8, v6
	ds_write2st64_b32 v48, v4, v6 offset0:3 offset1:6
	v_lshrrev_b32_e32 v4, 16, v19
	s_waitcnt vmcnt(12)
	v_mul_f16_sdwa v6, v59, v4 dst_sel:DWORD dst_unused:UNUSED_PAD src0_sel:WORD_1 src1_sel:DWORD
	v_mul_f16_sdwa v8, v59, v19 dst_sel:DWORD dst_unused:UNUSED_PAD src0_sel:WORD_1 src1_sel:DWORD
	v_fma_f16 v6, v59, v19, v6
	v_fma_f16 v4, v59, v4, -v8
	v_pack_b32_f16 v4, v6, v4
	s_waitcnt vmcnt(9)
	v_lshrrev_b32_e32 v6, 16, v9
	v_mul_f16_sdwa v8, v57, v6 dst_sel:DWORD dst_unused:UNUSED_PAD src0_sel:WORD_1 src1_sel:DWORD
	v_fma_f16 v8, v57, v9, v8
	v_mul_f16_sdwa v9, v57, v9 dst_sel:DWORD dst_unused:UNUSED_PAD src0_sel:WORD_1 src1_sel:DWORD
	v_fma_f16 v6, v57, v6, -v9
	v_pack_b32_f16 v6, v8, v6
	ds_write2st64_b32 v48, v4, v6 offset0:9 offset1:12
	s_waitcnt vmcnt(8)
	v_lshrrev_b32_e32 v4, 16, v10
	v_mul_f16_sdwa v6, v56, v4 dst_sel:DWORD dst_unused:UNUSED_PAD src0_sel:WORD_1 src1_sel:DWORD
	v_mul_f16_sdwa v8, v56, v10 dst_sel:DWORD dst_unused:UNUSED_PAD src0_sel:WORD_1 src1_sel:DWORD
	v_fma_f16 v6, v56, v10, v6
	v_fma_f16 v4, v56, v4, -v8
	v_pack_b32_f16 v4, v6, v4
	s_waitcnt vmcnt(7)
	v_lshrrev_b32_e32 v6, 16, v11
	s_waitcnt vmcnt(6)
	v_mul_f16_sdwa v8, v54, v6 dst_sel:DWORD dst_unused:UNUSED_PAD src0_sel:WORD_1 src1_sel:DWORD
	v_mul_f16_sdwa v9, v54, v11 dst_sel:DWORD dst_unused:UNUSED_PAD src0_sel:WORD_1 src1_sel:DWORD
	v_fma_f16 v8, v54, v11, v8
	v_fma_f16 v6, v54, v6, -v9
	v_pack_b32_f16 v6, v8, v6
	ds_write2st64_b32 v48, v4, v6 offset0:15 offset1:18
	s_waitcnt vmcnt(4)
	v_lshrrev_b32_e32 v4, 16, v12
	s_waitcnt vmcnt(3)
	v_mul_f16_sdwa v6, v53, v4 dst_sel:DWORD dst_unused:UNUSED_PAD src0_sel:WORD_1 src1_sel:DWORD
	v_mul_f16_sdwa v8, v53, v12 dst_sel:DWORD dst_unused:UNUSED_PAD src0_sel:WORD_1 src1_sel:DWORD
	v_fma_f16 v6, v53, v12, v6
	v_fma_f16 v4, v53, v4, -v8
	v_pack_b32_f16 v4, v6, v4
	s_waitcnt vmcnt(2)
	v_lshrrev_b32_e32 v6, 16, v7
	v_mul_f16_sdwa v8, v51, v6 dst_sel:DWORD dst_unused:UNUSED_PAD src0_sel:WORD_1 src1_sel:DWORD
	v_fma_f16 v8, v51, v7, v8
	v_mul_f16_sdwa v7, v51, v7 dst_sel:DWORD dst_unused:UNUSED_PAD src0_sel:WORD_1 src1_sel:DWORD
	v_fma_f16 v6, v51, v6, -v7
	v_pack_b32_f16 v6, v8, v6
	ds_write2st64_b32 v48, v4, v6 offset0:21 offset1:24
	s_waitcnt vmcnt(1)
	v_lshrrev_b32_e32 v4, 16, v5
	s_waitcnt vmcnt(0)
	v_mul_f16_sdwa v6, v49, v4 dst_sel:DWORD dst_unused:UNUSED_PAD src0_sel:WORD_1 src1_sel:DWORD
	v_fma_f16 v6, v49, v5, v6
	v_mul_f16_sdwa v5, v49, v5 dst_sel:DWORD dst_unused:UNUSED_PAD src0_sel:WORD_1 src1_sel:DWORD
	v_fma_f16 v4, v49, v4, -v5
	v_pack_b32_f16 v4, v6, v4
	ds_write_b32 v48, v4 offset:6912
	s_and_saveexec_b64 s[2:3], s[0:1]
	s_cbranch_execz .LBB0_3
; %bb.2:
	v_mov_b32_e32 v4, 0xffffe6e0
	v_mad_u64_u32 v[2:3], s[18:19], s12, v4, v[2:3]
	s_mulk_i32 s13, 0xe6e0
	s_sub_i32 s12, s13, s12
	v_add_u32_e32 v3, s12, v3
	global_load_dword v4, v[2:3], off
	global_load_dword v5, v[27:28], off offset:480
	v_mov_b32_e32 v6, s17
	v_add_co_u32_e32 v2, vcc, s16, v2
	v_addc_co_u32_e32 v3, vcc, v3, v6, vcc
	global_load_dword v7, v[2:3], off
	global_load_dword v8, v[27:28], off offset:1248
	v_add_co_u32_e32 v2, vcc, s16, v2
	v_addc_co_u32_e32 v3, vcc, v3, v6, vcc
	global_load_dword v9, v[2:3], off
	global_load_dword v10, v[27:28], off offset:2016
	;; [unrolled: 4-line block ×9, first 2 shown]
	v_add_u32_e32 v0, 0xe0, v48
	s_waitcnt vmcnt(19)
	v_lshrrev_b32_e32 v1, 16, v4
	s_waitcnt vmcnt(18)
	v_mul_f16_sdwa v2, v5, v4 dst_sel:DWORD dst_unused:UNUSED_PAD src0_sel:WORD_1 src1_sel:DWORD
	v_mul_f16_sdwa v3, v5, v1 dst_sel:DWORD dst_unused:UNUSED_PAD src0_sel:WORD_1 src1_sel:DWORD
	v_fma_f16 v1, v5, v1, -v2
	v_fma_f16 v3, v5, v4, v3
	v_pack_b32_f16 v1, v3, v1
	s_waitcnt vmcnt(17)
	v_lshrrev_b32_e32 v2, 16, v7
	s_waitcnt vmcnt(16)
	v_mul_f16_sdwa v24, v8, v7 dst_sel:DWORD dst_unused:UNUSED_PAD src0_sel:WORD_1 src1_sel:DWORD
	v_mul_f16_sdwa v4, v8, v2 dst_sel:DWORD dst_unused:UNUSED_PAD src0_sel:WORD_1 src1_sel:DWORD
	v_fma_f16 v2, v8, v2, -v24
	v_fma_f16 v3, v8, v7, v4
	s_waitcnt vmcnt(15)
	v_lshrrev_b32_e32 v5, 16, v9
	s_waitcnt vmcnt(14)
	v_mul_f16_sdwa v4, v10, v5 dst_sel:DWORD dst_unused:UNUSED_PAD src0_sel:WORD_1 src1_sel:DWORD
	v_mul_f16_sdwa v24, v10, v9 dst_sel:DWORD dst_unused:UNUSED_PAD src0_sel:WORD_1 src1_sel:DWORD
	v_pack_b32_f16 v2, v3, v2
	v_fma_f16 v3, v10, v9, v4
	s_waitcnt vmcnt(13)
	v_lshrrev_b32_e32 v7, 16, v11
	s_waitcnt vmcnt(12)
	v_mul_f16_sdwa v8, v12, v11 dst_sel:DWORD dst_unused:UNUSED_PAD src0_sel:WORD_1 src1_sel:DWORD
	v_mul_f16_sdwa v4, v12, v7 dst_sel:DWORD dst_unused:UNUSED_PAD src0_sel:WORD_1 src1_sel:DWORD
	v_fma_f16 v5, v10, v5, -v24
	v_fma_f16 v7, v12, v7, -v8
	s_waitcnt vmcnt(11)
	v_lshrrev_b32_e32 v8, 16, v13
	ds_write2st64_b32 v0, v1, v2 offset0:1 offset1:4
	v_fma_f16 v2, v12, v11, v4
	s_waitcnt vmcnt(10)
	v_mul_f16_sdwa v9, v14, v13 dst_sel:DWORD dst_unused:UNUSED_PAD src0_sel:WORD_1 src1_sel:DWORD
	v_pack_b32_f16 v1, v3, v5
	v_mul_f16_sdwa v3, v14, v8 dst_sel:DWORD dst_unused:UNUSED_PAD src0_sel:WORD_1 src1_sel:DWORD
	v_pack_b32_f16 v2, v2, v7
	v_fma_f16 v3, v14, v13, v3
	ds_write2st64_b32 v0, v1, v2 offset0:7 offset1:10
	v_fma_f16 v1, v14, v8, -v9
	s_waitcnt vmcnt(9)
	v_lshrrev_b32_e32 v2, 16, v15
	v_pack_b32_f16 v1, v3, v1
	s_waitcnt vmcnt(8)
	v_mul_f16_sdwa v3, v16, v2 dst_sel:DWORD dst_unused:UNUSED_PAD src0_sel:WORD_1 src1_sel:DWORD
	v_mul_f16_sdwa v4, v16, v15 dst_sel:DWORD dst_unused:UNUSED_PAD src0_sel:WORD_1 src1_sel:DWORD
	v_fma_f16 v3, v16, v15, v3
	v_fma_f16 v2, v16, v2, -v4
	v_pack_b32_f16 v2, v3, v2
	ds_write2st64_b32 v0, v1, v2 offset0:13 offset1:16
	s_waitcnt vmcnt(7)
	v_lshrrev_b32_e32 v1, 16, v17
	s_waitcnt vmcnt(6)
	v_mul_f16_sdwa v2, v18, v1 dst_sel:DWORD dst_unused:UNUSED_PAD src0_sel:WORD_1 src1_sel:DWORD
	v_mul_f16_sdwa v3, v18, v17 dst_sel:DWORD dst_unused:UNUSED_PAD src0_sel:WORD_1 src1_sel:DWORD
	v_fma_f16 v2, v18, v17, v2
	v_fma_f16 v1, v18, v1, -v3
	v_pack_b32_f16 v1, v2, v1
	s_waitcnt vmcnt(5)
	v_lshrrev_b32_e32 v2, 16, v19
	s_waitcnt vmcnt(4)
	v_mul_f16_sdwa v3, v20, v2 dst_sel:DWORD dst_unused:UNUSED_PAD src0_sel:WORD_1 src1_sel:DWORD
	v_mul_f16_sdwa v4, v20, v19 dst_sel:DWORD dst_unused:UNUSED_PAD src0_sel:WORD_1 src1_sel:DWORD
	v_fma_f16 v3, v20, v19, v3
	v_fma_f16 v2, v20, v2, -v4
	v_pack_b32_f16 v2, v3, v2
	ds_write2st64_b32 v0, v1, v2 offset0:19 offset1:22
	s_waitcnt vmcnt(3)
	v_lshrrev_b32_e32 v1, 16, v21
	s_waitcnt vmcnt(2)
	v_mul_f16_sdwa v2, v22, v1 dst_sel:DWORD dst_unused:UNUSED_PAD src0_sel:WORD_1 src1_sel:DWORD
	v_mul_f16_sdwa v3, v22, v21 dst_sel:DWORD dst_unused:UNUSED_PAD src0_sel:WORD_1 src1_sel:DWORD
	v_fma_f16 v2, v22, v21, v2
	v_fma_f16 v1, v22, v1, -v3
	v_pack_b32_f16 v1, v2, v1
	s_waitcnt vmcnt(1)
	v_lshrrev_b32_e32 v2, 16, v6
	s_waitcnt vmcnt(0)
	v_mul_f16_sdwa v3, v23, v2 dst_sel:DWORD dst_unused:UNUSED_PAD src0_sel:WORD_1 src1_sel:DWORD
	v_mul_f16_sdwa v4, v23, v6 dst_sel:DWORD dst_unused:UNUSED_PAD src0_sel:WORD_1 src1_sel:DWORD
	v_fma_f16 v3, v23, v6, v3
	v_fma_f16 v2, v23, v2, -v4
	v_pack_b32_f16 v2, v3, v2
	ds_write2st64_b32 v0, v1, v2 offset0:25 offset1:28
.LBB0_3:
	s_or_b64 exec, exec, s[2:3]
	s_waitcnt lgkmcnt(0)
	s_barrier
	ds_read2st64_b32 v[16:17], v48 offset0:3 offset1:6
	ds_read2st64_b32 v[0:1], v48 offset0:9 offset1:12
	;; [unrolled: 1-line block ×4, first 2 shown]
	ds_read_b32 v18, v64
	ds_read_b32 v20, v48 offset:6912
                                        ; implicit-def: $vgpr12
                                        ; implicit-def: $vgpr10
                                        ; implicit-def: $vgpr8
                                        ; implicit-def: $vgpr6
                                        ; implicit-def: $vgpr14
	s_and_saveexec_b64 s[2:3], s[0:1]
	s_cbranch_execz .LBB0_5
; %bb.4:
	v_add_u32_e32 v12, 0xe0, v48
	ds_read2st64_b32 v[14:15], v12 offset0:1 offset1:4
	ds_read2st64_b32 v[6:7], v12 offset0:7 offset1:10
	;; [unrolled: 1-line block ×5, first 2 shown]
.LBB0_5:
	s_or_b64 exec, exec, s[2:3]
	s_waitcnt lgkmcnt(3)
	v_add_f16_e32 v19, v1, v3
	s_waitcnt lgkmcnt(1)
	v_fma_f16 v19, v19, -0.5, v18
	v_sub_f16_sdwa v22, v17, v5 dst_sel:DWORD dst_unused:UNUSED_PAD src0_sel:WORD_1 src1_sel:WORD_1
	s_movk_i32 s12, 0x3b9c
	s_mov_b32 s3, 0xbb9c
	v_fma_f16 v23, v22, s12, v19
	v_sub_f16_sdwa v24, v1, v3 dst_sel:DWORD dst_unused:UNUSED_PAD src0_sel:WORD_1 src1_sel:WORD_1
	s_movk_i32 s13, 0x38b4
	v_sub_f16_e32 v25, v5, v3
	v_sub_f16_e32 v26, v17, v1
	v_fma_f16 v19, v22, s3, v19
	s_mov_b32 s2, 0xb8b4
	v_fma_f16 v23, v24, s13, v23
	v_add_f16_e32 v25, v26, v25
	s_movk_i32 s16, 0x34f2
	v_fma_f16 v19, v24, s2, v19
	v_fma_f16 v23, v25, s16, v23
	v_fma_f16 v19, v25, s16, v19
	v_add_f16_e32 v25, v17, v5
	v_fma_f16 v25, v25, -0.5, v18
	v_fma_f16 v26, v24, s3, v25
	v_fma_f16 v24, v24, s12, v25
	v_pk_add_f16 v21, v18, v17
	v_fma_f16 v26, v22, s13, v26
	v_sub_f16_e32 v30, v3, v5
	v_sub_f16_e32 v31, v1, v17
	v_fma_f16 v22, v22, s2, v24
	v_add_f16_sdwa v24, v1, v3 dst_sel:DWORD dst_unused:UNUSED_PAD src0_sel:WORD_1 src1_sel:WORD_1
	v_lshrrev_b32_e32 v18, 16, v18
	v_add_f16_e32 v30, v31, v30
	v_fma_f16 v24, v24, -0.5, v18
	v_sub_f16_e32 v25, v17, v5
	v_fma_f16 v26, v30, s16, v26
	v_fma_f16 v22, v30, s16, v22
	;; [unrolled: 1-line block ×3, first 2 shown]
	v_sub_f16_e32 v31, v1, v3
	v_sub_f16_sdwa v32, v17, v1 dst_sel:DWORD dst_unused:UNUSED_PAD src0_sel:WORD_1 src1_sel:WORD_1
	v_sub_f16_sdwa v33, v5, v3 dst_sel:DWORD dst_unused:UNUSED_PAD src0_sel:WORD_1 src1_sel:WORD_1
	v_fma_f16 v24, v25, s12, v24
	v_fma_f16 v30, v31, s2, v30
	v_add_f16_e32 v32, v32, v33
	v_fma_f16 v24, v31, s13, v24
	v_fma_f16 v30, v32, s16, v30
	;; [unrolled: 1-line block ×3, first 2 shown]
	v_add_f16_sdwa v32, v17, v5 dst_sel:DWORD dst_unused:UNUSED_PAD src0_sel:WORD_1 src1_sel:WORD_1
	v_fma_f16 v18, v32, -0.5, v18
	v_fma_f16 v32, v31, s12, v18
	v_sub_f16_sdwa v17, v1, v17 dst_sel:DWORD dst_unused:UNUSED_PAD src0_sel:WORD_1 src1_sel:WORD_1
	v_sub_f16_sdwa v33, v3, v5 dst_sel:DWORD dst_unused:UNUSED_PAD src0_sel:WORD_1 src1_sel:WORD_1
	v_fma_f16 v18, v31, s3, v18
	v_fma_f16 v32, v25, s2, v32
	v_add_f16_e32 v17, v17, v33
	v_fma_f16 v18, v25, s13, v18
	v_fma_f16 v32, v17, s16, v32
	;; [unrolled: 1-line block ×3, first 2 shown]
	v_add_f16_e32 v18, v2, v4
	v_fma_f16 v18, v18, -0.5, v16
	s_waitcnt lgkmcnt(0)
	v_sub_f16_sdwa v31, v0, v20 dst_sel:DWORD dst_unused:UNUSED_PAD src0_sel:WORD_1 src1_sel:WORD_1
	v_fma_f16 v33, v31, s12, v18
	v_sub_f16_sdwa v34, v2, v4 dst_sel:DWORD dst_unused:UNUSED_PAD src0_sel:WORD_1 src1_sel:WORD_1
	v_sub_f16_e32 v36, v20, v4
	v_sub_f16_e32 v37, v0, v2
	v_fma_f16 v18, v31, s3, v18
	v_fma_f16 v33, v34, s13, v33
	v_add_f16_e32 v36, v37, v36
	v_fma_f16 v18, v34, s2, v18
	v_fma_f16 v33, v36, s16, v33
	;; [unrolled: 1-line block ×3, first 2 shown]
	v_add_f16_e32 v36, v0, v20
	v_fma_f16 v36, v36, -0.5, v16
	v_fma_f16 v37, v34, s3, v36
	v_fma_f16 v34, v34, s12, v36
	v_pk_add_f16 v25, v16, v0
	v_fma_f16 v37, v31, s13, v37
	v_sub_f16_e32 v38, v4, v20
	v_sub_f16_e32 v39, v2, v0
	v_fma_f16 v31, v31, s2, v34
	v_add_f16_sdwa v34, v2, v4 dst_sel:DWORD dst_unused:UNUSED_PAD src0_sel:WORD_1 src1_sel:WORD_1
	v_lshrrev_b32_e32 v16, 16, v16
	v_add_f16_e32 v38, v39, v38
	v_fma_f16 v34, v34, -0.5, v16
	v_sub_f16_e32 v36, v0, v20
	v_fma_f16 v37, v38, s16, v37
	v_fma_f16 v31, v38, s16, v31
	;; [unrolled: 1-line block ×3, first 2 shown]
	v_sub_f16_e32 v39, v2, v4
	v_sub_f16_sdwa v41, v0, v2 dst_sel:DWORD dst_unused:UNUSED_PAD src0_sel:WORD_1 src1_sel:WORD_1
	v_sub_f16_sdwa v42, v20, v4 dst_sel:DWORD dst_unused:UNUSED_PAD src0_sel:WORD_1 src1_sel:WORD_1
	v_fma_f16 v34, v36, s12, v34
	v_fma_f16 v38, v39, s2, v38
	v_add_f16_e32 v41, v41, v42
	v_fma_f16 v34, v39, s13, v34
	v_fma_f16 v38, v41, s16, v38
	;; [unrolled: 1-line block ×3, first 2 shown]
	v_add_f16_sdwa v41, v0, v20 dst_sel:DWORD dst_unused:UNUSED_PAD src0_sel:WORD_1 src1_sel:WORD_1
	v_fma_f16 v16, v41, -0.5, v16
	v_fma_f16 v41, v39, s12, v16
	v_sub_f16_sdwa v0, v2, v0 dst_sel:DWORD dst_unused:UNUSED_PAD src0_sel:WORD_1 src1_sel:WORD_1
	v_sub_f16_sdwa v42, v4, v20 dst_sel:DWORD dst_unused:UNUSED_PAD src0_sel:WORD_1 src1_sel:WORD_1
	v_fma_f16 v16, v39, s3, v16
	v_fma_f16 v41, v36, s2, v41
	v_add_f16_e32 v0, v0, v42
	v_fma_f16 v16, v36, s13, v16
	v_fma_f16 v41, v0, s16, v41
	;; [unrolled: 1-line block ×3, first 2 shown]
	v_mul_f16_e32 v39, 0x34f2, v31
	v_fma_f16 v39, v0, s12, -v39
	v_mul_f16_e32 v0, 0x34f2, v0
	v_mul_f16_e32 v16, 0x3a79, v33
	;; [unrolled: 1-line block ×3, first 2 shown]
	v_fma_f16 v0, v31, s3, -v0
	s_movk_i32 s17, 0x3a79
	v_fma_f16 v16, v38, s13, v16
	v_fma_f16 v46, v34, s13, -v46
	v_mul_f16_e32 v33, 0xb8b4, v33
	v_add_f16_e32 v68, v17, v0
	v_sub_f16_e32 v17, v17, v0
	v_add_f16_e32 v0, v10, v8
	v_add_f16_e32 v42, v23, v16
	;; [unrolled: 1-line block ×3, first 2 shown]
	v_fma_f16 v33, v38, s17, v33
	v_mul_f16_e32 v31, 0x3a79, v34
	v_sub_f16_e32 v23, v23, v16
	v_sub_f16_e32 v46, v19, v46
	v_fma_f16 v16, v0, -0.5, v14
	v_sub_f16_sdwa v19, v6, v12 dst_sel:DWORD dst_unused:UNUSED_PAD src0_sel:WORD_1 src1_sel:WORD_1
	v_add_f16_e32 v66, v30, v33
	v_fma_f16 v18, v18, s2, -v31
	v_sub_f16_e32 v33, v30, v33
	v_fma_f16 v0, v19, s12, v16
	v_sub_f16_sdwa v30, v8, v10 dst_sel:DWORD dst_unused:UNUSED_PAD src0_sel:WORD_1 src1_sel:WORD_1
	v_sub_f16_e32 v31, v6, v8
	v_sub_f16_e32 v34, v12, v10
	v_fma_f16 v16, v19, s3, v16
	v_mul_f16_e32 v36, 0x3b9c, v41
	v_fma_f16 v0, v30, s13, v0
	v_add_f16_e32 v31, v34, v31
	v_fma_f16 v16, v30, s2, v16
	v_fma_f16 v36, v37, s16, v36
	v_mul_f16_e32 v37, 0xbb9c, v37
	v_fma_f16 v0, v31, s16, v0
	v_fma_f16 v31, v31, s16, v16
	v_add_f16_e32 v16, v12, v6
	v_fma_f16 v37, v41, s16, v37
	v_fma_f16 v16, v16, -0.5, v14
	v_add_f16_e32 v43, v26, v36
	v_add_f16_e32 v41, v32, v37
	v_sub_f16_e32 v26, v26, v36
	v_sub_f16_e32 v32, v32, v37
	v_fma_f16 v34, v30, s3, v16
	v_sub_f16_e32 v36, v8, v6
	v_sub_f16_e32 v37, v10, v12
	v_fma_f16 v16, v30, s12, v16
	v_add_f16_e32 v36, v37, v36
	v_fma_f16 v16, v19, s2, v16
	v_add_f16_e32 v69, v24, v18
	v_sub_f16_e32 v24, v24, v18
	v_pk_add_f16 v18, v6, v14
	v_fma_f16 v34, v19, s13, v34
	v_fma_f16 v30, v36, s16, v16
	v_add_f16_sdwa v16, v10, v8 dst_sel:DWORD dst_unused:UNUSED_PAD src0_sel:WORD_1 src1_sel:WORD_1
	v_lshrrev_b32_e32 v14, 16, v14
	v_fma_f16 v37, v36, s16, v34
	v_fma_f16 v19, v16, -0.5, v14
	v_sub_f16_e32 v34, v6, v12
	v_add_f16_e32 v45, v22, v39
	v_sub_f16_e32 v22, v22, v39
	v_fma_f16 v16, v34, s3, v19
	v_sub_f16_e32 v36, v8, v10
	v_sub_f16_sdwa v38, v6, v8 dst_sel:DWORD dst_unused:UNUSED_PAD src0_sel:WORD_1 src1_sel:WORD_1
	v_sub_f16_sdwa v39, v12, v10 dst_sel:DWORD dst_unused:UNUSED_PAD src0_sel:WORD_1 src1_sel:WORD_1
	v_fma_f16 v19, v34, s12, v19
	v_add_f16_e32 v38, v39, v38
	v_fma_f16 v19, v36, s13, v19
	v_fma_f16 v67, v38, s16, v19
	v_add_f16_sdwa v19, v12, v6 dst_sel:DWORD dst_unused:UNUSED_PAD src0_sel:WORD_1 src1_sel:WORD_1
	v_fma_f16 v16, v36, s2, v16
	v_fma_f16 v14, v19, -0.5, v14
	v_fma_f16 v16, v38, s16, v16
	v_fma_f16 v19, v36, s12, v14
	v_sub_f16_sdwa v6, v8, v6 dst_sel:DWORD dst_unused:UNUSED_PAD src0_sel:WORD_1 src1_sel:WORD_1
	v_sub_f16_sdwa v38, v10, v12 dst_sel:DWORD dst_unused:UNUSED_PAD src0_sel:WORD_1 src1_sel:WORD_1
	v_fma_f16 v14, v36, s3, v14
	v_fma_f16 v19, v34, s2, v19
	v_add_f16_e32 v6, v38, v6
	v_fma_f16 v14, v34, s13, v14
	v_fma_f16 v70, v6, s16, v19
	;; [unrolled: 1-line block ×3, first 2 shown]
	v_add_f16_e32 v6, v11, v9
	v_fma_f16 v6, v6, -0.5, v15
	v_sub_f16_sdwa v19, v7, v13 dst_sel:DWORD dst_unused:UNUSED_PAD src0_sel:WORD_1 src1_sel:WORD_1
	v_fma_f16 v34, v19, s12, v6
	v_sub_f16_sdwa v36, v9, v11 dst_sel:DWORD dst_unused:UNUSED_PAD src0_sel:WORD_1 src1_sel:WORD_1
	v_sub_f16_e32 v38, v7, v9
	v_sub_f16_e32 v39, v13, v11
	v_fma_f16 v6, v19, s3, v6
	v_add_f16_e32 v38, v39, v38
	v_fma_f16 v6, v36, s2, v6
	v_fma_f16 v39, v38, s16, v6
	v_add_f16_e32 v6, v13, v7
	v_fma_f16 v34, v36, s13, v34
	v_fma_f16 v6, v6, -0.5, v15
	v_fma_f16 v34, v38, s16, v34
	v_fma_f16 v38, v36, s3, v6
	v_sub_f16_e32 v72, v9, v7
	v_sub_f16_e32 v73, v11, v13
	v_fma_f16 v6, v36, s12, v6
	v_add_f16_e32 v72, v73, v72
	v_fma_f16 v6, v19, s2, v6
	v_fma_f16 v36, v72, s16, v6
	v_pk_add_f16 v6, v8, v18
	v_pk_add_f16 v6, v10, v6
	v_pk_add_f16 v14, v7, v15
	v_pk_add_f16 v6, v12, v6
	v_add_f16_sdwa v10, v11, v9 dst_sel:DWORD dst_unused:UNUSED_PAD src0_sel:WORD_1 src1_sel:WORD_1
	v_lshrrev_b32_e32 v12, 16, v15
	v_fma_f16 v38, v19, s13, v38
	v_pk_add_f16 v8, v9, v14
	v_fma_f16 v10, v10, -0.5, v12
	v_sub_f16_e32 v14, v7, v13
	v_fma_f16 v38, v72, s16, v38
	v_fma_f16 v15, v14, s3, v10
	v_sub_f16_e32 v18, v9, v11
	v_sub_f16_sdwa v19, v7, v9 dst_sel:DWORD dst_unused:UNUSED_PAD src0_sel:WORD_1 src1_sel:WORD_1
	v_sub_f16_sdwa v72, v13, v11 dst_sel:DWORD dst_unused:UNUSED_PAD src0_sel:WORD_1 src1_sel:WORD_1
	v_fma_f16 v10, v14, s12, v10
	v_fma_f16 v15, v18, s2, v15
	v_add_f16_e32 v19, v72, v19
	v_fma_f16 v10, v18, s13, v10
	v_fma_f16 v15, v19, s16, v15
	;; [unrolled: 1-line block ×3, first 2 shown]
	v_add_f16_sdwa v19, v13, v7 dst_sel:DWORD dst_unused:UNUSED_PAD src0_sel:WORD_1 src1_sel:WORD_1
	v_fma_f16 v12, v19, -0.5, v12
	v_fma_f16 v19, v18, s12, v12
	v_sub_f16_sdwa v7, v9, v7 dst_sel:DWORD dst_unused:UNUSED_PAD src0_sel:WORD_1 src1_sel:WORD_1
	v_sub_f16_sdwa v9, v11, v13 dst_sel:DWORD dst_unused:UNUSED_PAD src0_sel:WORD_1 src1_sel:WORD_1
	v_fma_f16 v19, v14, s2, v19
	v_add_f16_e32 v7, v9, v7
	v_fma_f16 v9, v18, s3, v12
	v_pk_add_f16 v8, v11, v8
	v_fma_f16 v11, v7, s16, v19
	v_fma_f16 v9, v14, s13, v9
	;; [unrolled: 1-line block ×3, first 2 shown]
	v_mul_f16_e32 v9, 0x3b9c, v11
	v_fma_f16 v18, v38, s16, v9
	v_mul_f16_e32 v9, 0x34f2, v36
	v_fma_f16 v72, v14, s12, -v9
	v_mul_f16_e32 v9, 0x3a79, v39
	v_pk_add_f16 v1, v21, v1
	v_fma_f16 v73, v10, s13, -v9
	v_mul_f16_e32 v14, 0x34f2, v14
	v_mul_f16_e32 v10, 0x3a79, v10
	v_pk_add_f16 v1, v1, v3
	v_mul_f16_e32 v9, 0xb8b4, v34
	v_fma_f16 v74, v36, s3, -v14
	v_fma_f16 v10, v39, s2, -v10
	v_pk_add_f16 v5, v1, v5
	v_pk_add_f16 v1, v25, v2
	s_load_dwordx2 s[4:5], s[4:5], 0x8
	v_mul_f16_e32 v7, 0x38b4, v15
	v_add_f16_e32 v19, v31, v73
	v_fma_f16 v9, v15, s17, v9
	v_mul_f16_e32 v15, 0xbb9c, v38
	v_add_f16_e32 v38, v71, v74
	v_add_f16_e32 v39, v67, v10
	v_sub_f16_e32 v31, v31, v73
	v_sub_f16_e32 v73, v71, v74
	;; [unrolled: 1-line block ×3, first 2 shown]
	v_mul_lo_u16_e32 v10, 10, v60
	v_pk_add_f16 v1, v1, v4
	v_add_lshl_u32 v67, v65, v10, 2
	v_pk_add_f16 v10, v1, v20
	v_pk_add_f16 v1, v5, v10
	v_pack_b32_f16 v2, v42, v66
	v_pack_b32_f16 v4, v45, v68
	;; [unrolled: 1-line block ×3, first 2 shown]
	v_add_co_u32_e32 v35, vcc, 0x78, v60
	v_pk_add_f16 v8, v13, v8
	v_fma_f16 v7, v34, s17, v7
	v_fma_f16 v11, v11, s16, v15
	s_waitcnt lgkmcnt(0)
	s_barrier
	ds_write2_b64 v67, v[1:2], v[3:4] offset1:1
	v_pk_add_f16 v2, v5, v10 neg_lo:[0,1] neg_hi:[0,1]
	v_pack_b32_f16 v3, v23, v33
	v_pack_b32_f16 v4, v26, v32
	;; [unrolled: 1-line block ×3, first 2 shown]
	v_add_f16_e32 v12, v37, v18
	v_add_f16_e32 v13, v30, v72
	;; [unrolled: 1-line block ×3, first 2 shown]
	v_sub_f16_e32 v14, v0, v7
	v_sub_f16_e32 v15, v37, v18
	;; [unrolled: 1-line block ×3, first 2 shown]
	v_pk_add_f16 v18, v6, v8 neg_lo:[0,1] neg_hi:[0,1]
	v_sub_f16_e32 v36, v16, v9
	v_sub_f16_e32 v37, v70, v11
	ds_write2_b64 v67, v[1:2], v[3:4] offset0:2 offset1:3
	v_pack_b32_f16 v2, v46, v24
	v_pack_b32_f16 v1, v22, v17
	v_mul_u32_u24_e32 v68, 10, v35
	ds_write_b64 v67, v[1:2] offset:32
	s_and_saveexec_b64 s[2:3], s[0:1]
	s_cbranch_execz .LBB0_7
; %bb.6:
	v_add_f16_e32 v1, v16, v9
	v_add_f16_e32 v4, v0, v7
	s_mov_b32 s12, 0x5040100
	v_add_lshl_u32 v5, v65, v68, 2
	v_pk_add_f16 v0, v8, v6
	v_perm_b32 v3, v38, v13, s12
	v_perm_b32 v2, v34, v12, s12
	v_pack_b32_f16 v1, v4, v1
	ds_write2_b64 v5, v[0:1], v[2:3] offset1:1
	v_perm_b32 v1, v37, v15, s12
	v_perm_b32 v0, v36, v14, s12
	;; [unrolled: 1-line block ×3, first 2 shown]
	ds_write2_b64 v5, v[17:18], v[0:1] offset0:2 offset1:3
	v_perm_b32 v1, v71, v31, s12
	v_perm_b32 v0, v73, v30, s12
	ds_write_b64 v5, v[0:1] offset:32
.LBB0_7:
	s_or_b64 exec, exec, s[2:3]
	v_add_u32_e32 v0, 0x180, v48
	s_waitcnt lgkmcnt(0)
	s_barrier
	ds_read2_b32 v[16:17], v0 offset0:24 offset1:224
	v_add_u32_e32 v0, 0x680, v48
	ds_read2_b32 v[32:33], v0 offset0:24 offset1:224
	v_add_u32_e32 v0, 0xb80, v48
	ds_read2_b32 v[21:22], v0 offset0:24 offset1:224
	v_add_u32_e32 v0, 0x1080, v48
	ds_read2_b32 v[23:24], v0 offset0:24 offset1:224
	v_add_u32_e32 v0, 0x1580, v48
	ds_read2_b32 v[25:26], v0 offset0:24 offset1:224
	ds_read_b32 v41, v64
	ds_read_b32 v42, v48 offset:6880
	s_movk_i32 s2, 0x50
	v_cmp_gt_u16_e32 vcc, s2, v60
	s_and_saveexec_b64 s[2:3], vcc
	s_cbranch_execz .LBB0_9
; %bb.8:
	v_add_u32_e32 v0, 0xc0, v48
	ds_read2st64_b32 v[12:13], v0 offset0:3 offset1:8
	ds_read2st64_b32 v[19:20], v0 offset0:13 offset1:18
	;; [unrolled: 1-line block ×3, first 2 shown]
	s_waitcnt lgkmcnt(2)
	v_lshrrev_b32_e32 v34, 16, v12
	v_lshrrev_b32_e32 v38, 16, v13
	s_waitcnt lgkmcnt(1)
	v_lshrrev_b32_e32 v39, 16, v19
	s_waitcnt lgkmcnt(0)
	v_lshrrev_b32_e32 v36, 16, v14
	v_lshrrev_b32_e32 v37, 16, v15
	v_mov_b32_e32 v18, v20
.LBB0_9:
	s_or_b64 exec, exec, s[2:3]
	s_movk_i32 s12, 0xcd
	v_mul_lo_u16_sdwa v0, v60, s12 dst_sel:DWORD dst_unused:UNUSED_PAD src0_sel:BYTE_0 src1_sel:DWORD
	v_lshrrev_b16_e32 v43, 11, v0
	v_add_u16_e32 v0, 0xf0, v60
	v_mul_u32_u24_e32 v1, 0xcccd, v0
	v_lshrrev_b32_e32 v47, 19, v1
	v_mul_lo_u16_e32 v4, 10, v43
	v_mul_lo_u16_e32 v1, 10, v47
	v_sub_u16_e32 v72, v0, v1
	v_sub_u16_e32 v4, v60, v4
	v_mul_lo_u16_e32 v0, 20, v72
	v_and_b32_e32 v78, 0xff, v4
	v_mul_lo_u16_sdwa v4, v35, s12 dst_sel:DWORD dst_unused:UNUSED_PAD src0_sel:BYTE_0 src1_sel:DWORD
	v_mov_b32_e32 v1, s5
	v_add_co_u32_e64 v45, s[2:3], s4, v0
	v_lshrrev_b16_e32 v79, 11, v4
	v_addc_co_u32_e64 v46, s[2:3], 0, v1, s[2:3]
	v_mad_u64_u32 v[74:75], s[2:3], v78, 20, s[4:5]
	v_mul_lo_u16_e32 v4, 10, v79
	v_sub_u16_e32 v4, v35, v4
	v_and_b32_e32 v80, 0xff, v4
	global_load_dwordx4 v[0:3], v[45:46], off
	global_load_dwordx4 v[8:11], v[74:75], off
	v_mad_u64_u32 v[76:77], s[2:3], v80, 20, s[4:5]
	global_load_dword v70, v[74:75], off offset:16
	global_load_dwordx4 v[4:7], v[76:77], off
	global_load_dword v69, v[76:77], off offset:16
	global_load_dword v66, v[45:46], off offset:16
	s_waitcnt lgkmcnt(5)
	v_lshrrev_b32_e32 v74, 16, v33
	s_waitcnt lgkmcnt(4)
	v_lshrrev_b32_e32 v83, 16, v21
	v_lshrrev_b32_e32 v46, 16, v17
	;; [unrolled: 1-line block ×3, first 2 shown]
	s_waitcnt lgkmcnt(3)
	v_lshrrev_b32_e32 v76, 16, v24
	s_waitcnt lgkmcnt(2)
	v_lshrrev_b32_e32 v77, 16, v26
	;; [unrolled: 2-line block ×3, first 2 shown]
	s_movk_i32 s2, 0x3aee
	s_mov_b32 s3, 0xbaee
	v_lshrrev_b32_e32 v85, 16, v25
	v_lshrrev_b32_e32 v84, 16, v23
	s_waitcnt lgkmcnt(0)
	v_lshrrev_b32_e32 v86, 16, v42
	v_lshrrev_b32_e32 v82, 16, v32
	v_lshrrev_b32_e32 v81, 16, v16
	v_mul_u32_u24_e32 v43, 60, v43
	v_add_u32_e32 v43, v43, v78
	s_waitcnt vmcnt(0)
	s_barrier
	v_mad_legacy_u16 v72, v47, 60, v72
	v_mul_f16_sdwa v87, v39, v1 dst_sel:DWORD dst_unused:UNUSED_PAD src0_sel:DWORD src1_sel:WORD_1
	v_mul_f16_sdwa v20, v38, v0 dst_sel:DWORD dst_unused:UNUSED_PAD src0_sel:DWORD src1_sel:WORD_1
	;; [unrolled: 1-line block ×4, first 2 shown]
	v_fma_f16 v19, v19, v1, -v87
	v_mul_f16_sdwa v87, v74, v9 dst_sel:DWORD dst_unused:UNUSED_PAD src0_sel:DWORD src1_sel:WORD_1
	v_mul_f16_sdwa v97, v83, v5 dst_sel:DWORD dst_unused:UNUSED_PAD src0_sel:DWORD src1_sel:WORD_1
	v_fma_f16 v13, v13, v0, -v20
	v_fma_f16 v20, v38, v0, v35
	v_fma_f16 v35, v39, v1, v88
	v_mul_f16_sdwa v38, v46, v8 dst_sel:DWORD dst_unused:UNUSED_PAD src0_sel:DWORD src1_sel:WORD_1
	v_mul_f16_sdwa v88, v33, v9 dst_sel:DWORD dst_unused:UNUSED_PAD src0_sel:DWORD src1_sel:WORD_1
	;; [unrolled: 1-line block ×3, first 2 shown]
	v_fma_f16 v33, v33, v9, -v87
	v_fma_f16 v87, v21, v5, -v97
	v_lshrrev_b32_e32 v21, 16, v18
	v_mul_f16_sdwa v39, v17, v8 dst_sel:DWORD dst_unused:UNUSED_PAD src0_sel:DWORD src1_sel:WORD_1
	v_fma_f16 v38, v17, v8, -v38
	v_mul_f16_sdwa v17, v21, v2 dst_sel:DWORD dst_unused:UNUSED_PAD src0_sel:DWORD src1_sel:WORD_1
	v_fma_f16 v17, v18, v2, -v17
	v_mul_f16_sdwa v18, v18, v2 dst_sel:DWORD dst_unused:UNUSED_PAD src0_sel:DWORD src1_sel:WORD_1
	v_fma_f16 v21, v21, v2, v18
	v_mul_f16_sdwa v18, v36, v3 dst_sel:DWORD dst_unused:UNUSED_PAD src0_sel:DWORD src1_sel:WORD_1
	v_mul_f16_sdwa v89, v75, v10 dst_sel:DWORD dst_unused:UNUSED_PAD src0_sel:DWORD src1_sel:WORD_1
	v_mul_f16_sdwa v90, v22, v10 dst_sel:DWORD dst_unused:UNUSED_PAD src0_sel:DWORD src1_sel:WORD_1
	v_mul_f16_sdwa v92, v24, v11 dst_sel:DWORD dst_unused:UNUSED_PAD src0_sel:DWORD src1_sel:WORD_1
	v_mul_f16_sdwa v94, v26, v70 dst_sel:DWORD dst_unused:UNUSED_PAD src0_sel:DWORD src1_sel:WORD_1
	v_fma_f16 v18, v14, v3, -v18
	v_mul_f16_sdwa v14, v14, v3 dst_sel:DWORD dst_unused:UNUSED_PAD src0_sel:DWORD src1_sel:WORD_1
	v_mul_f16_sdwa v91, v76, v11 dst_sel:DWORD dst_unused:UNUSED_PAD src0_sel:DWORD src1_sel:WORD_1
	;; [unrolled: 1-line block ×3, first 2 shown]
	v_fma_f16 v39, v46, v8, v39
	v_fma_f16 v46, v74, v9, v88
	;; [unrolled: 1-line block ×5, first 2 shown]
	v_fma_f16 v77, v22, v10, -v89
	v_fma_f16 v22, v36, v3, v14
	v_mul_f16_sdwa v14, v37, v66 dst_sel:DWORD dst_unused:UNUSED_PAD src0_sel:DWORD src1_sel:WORD_1
	v_fma_f16 v24, v24, v11, -v91
	v_fma_f16 v14, v15, v66, -v14
	v_mul_f16_sdwa v15, v15, v66 dst_sel:DWORD dst_unused:UNUSED_PAD src0_sel:DWORD src1_sel:WORD_1
	v_fma_f16 v15, v37, v66, v15
	v_add_f16_e32 v37, v33, v24
	v_add_f16_e32 v36, v41, v33
	v_fma_f16 v37, v37, -0.5, v41
	v_sub_f16_e32 v41, v46, v75
	v_fma_f16 v26, v26, v70, -v93
	v_fma_f16 v88, v41, s2, v37
	v_fma_f16 v37, v41, s3, v37
	v_add_f16_e32 v41, v45, v46
	v_add_f16_e32 v46, v46, v75
	;; [unrolled: 1-line block ×3, first 2 shown]
	v_fma_f16 v45, v46, -0.5, v45
	v_sub_f16_e32 v24, v33, v24
	v_add_f16_e32 v46, v77, v26
	v_fma_f16 v33, v24, s3, v45
	v_fma_f16 v24, v24, s2, v45
	v_add_f16_e32 v45, v38, v77
	v_fma_f16 v38, v46, -0.5, v38
	v_sub_f16_e32 v46, v74, v76
	v_add_f16_e32 v41, v41, v75
	v_fma_f16 v75, v46, s2, v38
	v_fma_f16 v38, v46, s3, v38
	v_add_f16_e32 v46, v39, v74
	v_add_f16_e32 v74, v74, v76
	;; [unrolled: 1-line block ×3, first 2 shown]
	v_fma_f16 v39, v74, -0.5, v39
	v_sub_f16_e32 v26, v77, v26
	v_fma_f16 v74, v26, s3, v39
	v_fma_f16 v26, v26, s2, v39
	v_mul_f16_e32 v89, -0.5, v38
	v_mul_f16_sdwa v101, v85, v7 dst_sel:DWORD dst_unused:UNUSED_PAD src0_sel:DWORD src1_sel:WORD_1
	v_mul_f16_sdwa v102, v25, v7 dst_sel:DWORD dst_unused:UNUSED_PAD src0_sel:DWORD src1_sel:WORD_1
	v_add_f16_e32 v46, v46, v76
	v_mul_f16_e32 v76, 0x3aee, v74
	v_fma_f16 v89, v26, s2, v89
	v_mul_f16_e32 v26, -0.5, v26
	v_mul_f16_sdwa v99, v84, v6 dst_sel:DWORD dst_unused:UNUSED_PAD src0_sel:DWORD src1_sel:WORD_1
	v_mul_f16_sdwa v103, v86, v69 dst_sel:DWORD dst_unused:UNUSED_PAD src0_sel:DWORD src1_sel:WORD_1
	v_fma_f16 v83, v83, v5, v98
	v_fma_f16 v25, v25, v7, -v101
	v_fma_f16 v85, v85, v7, v102
	v_fma_f16 v76, v75, 0.5, v76
	v_fma_f16 v26, v38, s3, v26
	v_mul_f16_sdwa v95, v82, v4 dst_sel:DWORD dst_unused:UNUSED_PAD src0_sel:DWORD src1_sel:WORD_1
	v_mul_f16_sdwa v100, v23, v6 dst_sel:DWORD dst_unused:UNUSED_PAD src0_sel:DWORD src1_sel:WORD_1
	;; [unrolled: 1-line block ×3, first 2 shown]
	v_fma_f16 v23, v23, v6, -v99
	v_fma_f16 v42, v42, v69, -v103
	v_add_f16_e32 v39, v36, v45
	v_add_f16_e32 v77, v88, v76
	;; [unrolled: 1-line block ×3, first 2 shown]
	v_mul_f16_e32 v75, 0xbaee, v75
	v_add_f16_e32 v92, v24, v26
	v_sub_f16_e32 v45, v36, v45
	v_sub_f16_e32 v76, v88, v76
	v_sub_f16_e32 v88, v37, v89
	v_sub_f16_e32 v89, v24, v26
	v_add_f16_e32 v24, v16, v87
	v_add_f16_e32 v26, v87, v25
	;; [unrolled: 1-line block ×3, first 2 shown]
	v_mul_f16_sdwa v96, v32, v4 dst_sel:DWORD dst_unused:UNUSED_PAD src0_sel:DWORD src1_sel:WORD_1
	v_fma_f16 v32, v32, v4, -v95
	v_fma_f16 v84, v84, v6, v100
	v_fma_f16 v86, v86, v69, v104
	v_fma_f16 v74, v74, 0.5, v75
	v_add_f16_e32 v24, v24, v25
	v_fma_f16 v16, v26, -0.5, v16
	v_sub_f16_e32 v26, v83, v85
	v_fma_f16 v36, v36, -0.5, v81
	v_sub_f16_e32 v25, v87, v25
	v_add_f16_e32 v38, v23, v42
	v_fma_f16 v82, v82, v4, v96
	v_add_f16_e32 v91, v41, v46
	v_add_f16_e32 v75, v33, v74
	v_sub_f16_e32 v41, v41, v46
	v_sub_f16_e32 v46, v33, v74
	v_fma_f16 v33, v26, s2, v16
	v_fma_f16 v16, v26, s3, v16
	v_add_f16_e32 v26, v81, v83
	v_fma_f16 v37, v25, s3, v36
	v_fma_f16 v25, v25, s2, v36
	v_add_f16_e32 v36, v32, v23
	v_fma_f16 v32, v38, -0.5, v32
	v_sub_f16_e32 v38, v84, v86
	v_add_f16_e32 v81, v84, v86
	v_fma_f16 v74, v38, s2, v32
	v_fma_f16 v32, v38, s3, v32
	v_fma_f16 v81, v81, -0.5, v82
	v_sub_f16_e32 v23, v23, v42
	v_add_f16_e32 v36, v36, v42
	v_add_f16_e32 v38, v82, v84
	v_fma_f16 v42, v23, s3, v81
	v_fma_f16 v23, v23, s2, v81
	v_mul_f16_e32 v84, -0.5, v32
	v_fma_f16 v84, v23, s2, v84
	v_mul_f16_e32 v23, -0.5, v23
	v_add_f16_e32 v87, v16, v84
	v_fma_f16 v23, v32, s3, v23
	v_sub_f16_e32 v84, v16, v84
	v_add_f16_e32 v16, v19, v18
	v_add_f16_e32 v81, v24, v36
	;; [unrolled: 1-line block ×3, first 2 shown]
	v_sub_f16_e32 v96, v24, v36
	v_sub_f16_e32 v98, v25, v23
	v_fma_f16 v23, v16, -0.5, v12
	v_sub_f16_e32 v24, v35, v22
	v_add_f16_e32 v26, v26, v85
	v_add_f16_e32 v38, v38, v86
	v_fma_f16 v16, v24, s2, v23
	v_fma_f16 v23, v24, s3, v23
	v_add_f16_e32 v24, v35, v22
	v_add_f16_e32 v93, v26, v38
	v_sub_f16_e32 v97, v26, v38
	v_fma_f16 v25, v24, -0.5, v34
	v_sub_f16_e32 v26, v19, v18
	v_mul_f16_e32 v82, 0x3aee, v42
	v_fma_f16 v24, v26, s3, v25
	v_fma_f16 v25, v26, s2, v25
	v_add_f16_e32 v26, v17, v14
	v_fma_f16 v82, v74, 0.5, v82
	v_mul_f16_e32 v74, 0xbaee, v74
	v_fma_f16 v26, v26, -0.5, v13
	v_sub_f16_e32 v32, v21, v15
	v_add_f16_e32 v83, v33, v82
	v_fma_f16 v42, v42, 0.5, v74
	v_sub_f16_e32 v82, v33, v82
	v_fma_f16 v33, v32, s2, v26
	v_fma_f16 v32, v32, s3, v26
	v_add_f16_e32 v26, v21, v15
	v_add_lshl_u32 v74, v65, v43, 2
	v_pack_b32_f16 v39, v39, v91
	v_pack_b32_f16 v43, v77, v75
	v_fma_f16 v26, v26, -0.5, v20
	v_sub_f16_e32 v36, v17, v14
	ds_write2_b32 v74, v39, v43 offset1:10
	v_pack_b32_f16 v39, v90, v92
	v_pack_b32_f16 v41, v45, v41
	v_add_f16_e32 v94, v37, v42
	v_sub_f16_e32 v42, v37, v42
	v_fma_f16 v37, v36, s3, v26
	ds_write2_b32 v74, v39, v41 offset0:20 offset1:30
	v_pack_b32_f16 v39, v76, v46
	v_pack_b32_f16 v41, v88, v89
	v_fma_f16 v38, v36, s2, v26
	v_mul_f16_e32 v26, 0x3aee, v37
	ds_write2_b32 v74, v39, v41 offset0:40 offset1:50
	v_mul_u32_u24_e32 v39, 60, v79
	v_fma_f16 v26, v33, 0.5, v26
	v_mul_f16_e32 v33, 0xbaee, v33
	v_add_u32_e32 v39, v39, v80
	v_mul_f16_e32 v36, -0.5, v32
	v_fma_f16 v37, v37, 0.5, v33
	v_mul_f16_e32 v33, -0.5, v38
	v_add_lshl_u32 v75, v65, v39, 2
	v_pack_b32_f16 v39, v81, v93
	v_pack_b32_f16 v41, v83, v94
	v_fma_f16 v36, v38, s2, v36
	v_fma_f16 v38, v32, s3, v33
	ds_write2_b32 v75, v39, v41 offset1:10
	v_pack_b32_f16 v39, v87, v95
	v_pack_b32_f16 v41, v96, v97
	v_sub_f16_e32 v32, v16, v26
	v_sub_f16_e32 v33, v23, v36
	v_sub_f16_e32 v86, v24, v37
	v_sub_f16_e32 v85, v25, v38
	ds_write2_b32 v75, v39, v41 offset0:20 offset1:30
	v_pack_b32_f16 v39, v82, v42
	v_pack_b32_f16 v41, v84, v98
	ds_write2_b32 v75, v39, v41 offset0:40 offset1:50
	s_and_saveexec_b64 s[2:3], vcc
	s_cbranch_execz .LBB0_11
; %bb.10:
	v_add_f16_e32 v34, v34, v35
	v_add_f16_e32 v20, v20, v21
	;; [unrolled: 1-line block ×8, first 2 shown]
	v_sub_f16_e32 v20, v22, v15
	v_sub_f16_e32 v14, v12, v13
	v_add_f16_e32 v18, v24, v37
	v_add_f16_e32 v15, v22, v15
	;; [unrolled: 1-line block ×6, first 2 shown]
	v_add_lshl_u32 v13, v65, v72, 2
	v_pack_b32_f16 v12, v12, v15
	v_pack_b32_f16 v15, v16, v18
	ds_write2_b32 v13, v12, v15 offset1:10
	v_pack_b32_f16 v12, v19, v17
	v_pack_b32_f16 v14, v14, v20
	s_mov_b32 s12, 0x5040100
	ds_write2_b32 v13, v12, v14 offset0:20 offset1:30
	v_perm_b32 v12, v86, v32, s12
	v_perm_b32 v14, v85, v33, s12
	ds_write2_b32 v13, v12, v14 offset0:40 offset1:50
.LBB0_11:
	s_or_b64 exec, exec, s[2:3]
	v_subrev_u32_e32 v12, 60, v60
	v_cmp_gt_u16_e64 s[2:3], 60, v60
	v_cndmask_b32_e64 v43, v12, v60, s[2:3]
	v_mul_i32_i24_e32 v13, 60, v43
	v_mul_hi_i32_i24_e32 v12, 60, v43
	v_mov_b32_e32 v47, s5
	v_add_co_u32_e64 v24, s[2:3], s4, v13
	v_addc_co_u32_e64 v25, s[2:3], v47, v12, s[2:3]
	s_waitcnt lgkmcnt(0)
	s_barrier
	global_load_dwordx4 v[12:15], v[24:25], off offset:200
	global_load_dwordx4 v[16:19], v[24:25], off offset:216
	global_load_dwordx4 v[20:23], v[24:25], off offset:232
	ds_read2_b32 v[34:35], v48 offset0:120 offset1:240
	global_load_dwordx3 v[24:26], v[24:25], off offset:248
	v_add_u32_e32 v94, 0x400, v48
	v_add_u32_e32 v95, 0x800, v48
	;; [unrolled: 1-line block ×6, first 2 shown]
	ds_read_b32 v80, v64
	ds_read_b32 v81, v48 offset:7200
	ds_read2_b32 v[36:37], v94 offset0:104 offset1:224
	ds_read2_b32 v[38:39], v95 offset0:88 offset1:208
	;; [unrolled: 1-line block ×6, first 2 shown]
	s_waitcnt lgkmcnt(8)
	v_lshrrev_b32_e32 v83, 16, v34
	v_lshrrev_b32_e32 v84, 16, v35
	s_waitcnt lgkmcnt(2)
	v_lshrrev_b32_e32 v101, 16, v46
	s_waitcnt lgkmcnt(1)
	v_lshrrev_b32_e32 v102, 16, v76
	v_lshrrev_b32_e32 v103, 16, v77
	s_waitcnt lgkmcnt(0)
	v_lshrrev_b32_e32 v104, 16, v78
	v_lshrrev_b32_e32 v105, 16, v79
	;; [unrolled: 1-line block ×11, first 2 shown]
	s_mov_b32 s2, 0xb9a8
	s_movk_i32 s3, 0x39a8
	s_mov_b32 s13, 0xbb64
	s_mov_b32 s16, 0xb61f
	s_movk_i32 s17, 0x361f
	s_movk_i32 s18, 0x3b64
	s_waitcnt vmcnt(0)
	s_barrier
	s_movk_i32 s12, 0x1000
	v_mul_f16_sdwa v106, v83, v12 dst_sel:DWORD dst_unused:UNUSED_PAD src0_sel:DWORD src1_sel:WORD_1
	v_mul_f16_sdwa v107, v34, v12 dst_sel:DWORD dst_unused:UNUSED_PAD src0_sel:DWORD src1_sel:WORD_1
	;; [unrolled: 1-line block ×3, first 2 shown]
	v_fma_f16 v34, v34, v12, -v106
	v_fma_f16 v106, v46, v21, -v124
	v_mul_f16_sdwa v46, v46, v21 dst_sel:DWORD dst_unused:UNUSED_PAD src0_sel:DWORD src1_sel:WORD_1
	v_fma_f16 v46, v101, v21, v46
	v_mul_f16_sdwa v101, v102, v22 dst_sel:DWORD dst_unused:UNUSED_PAD src0_sel:DWORD src1_sel:WORD_1
	v_fma_f16 v101, v76, v22, -v101
	v_mul_f16_sdwa v76, v76, v22 dst_sel:DWORD dst_unused:UNUSED_PAD src0_sel:DWORD src1_sel:WORD_1
	v_fma_f16 v76, v102, v22, v76
	v_mul_f16_sdwa v102, v103, v23 dst_sel:DWORD dst_unused:UNUSED_PAD src0_sel:DWORD src1_sel:WORD_1
	;; [unrolled: 4-line block ×4, first 2 shown]
	v_fma_f16 v104, v79, v25, -v104
	v_mul_f16_sdwa v79, v79, v25 dst_sel:DWORD dst_unused:UNUSED_PAD src0_sel:DWORD src1_sel:WORD_1
	v_mul_f16_sdwa v108, v84, v13 dst_sel:DWORD dst_unused:UNUSED_PAD src0_sel:DWORD src1_sel:WORD_1
	;; [unrolled: 1-line block ×9, first 2 shown]
	v_fma_f16 v79, v105, v25, v79
	v_mul_f16_sdwa v105, v88, v26 dst_sel:DWORD dst_unused:UNUSED_PAD src0_sel:DWORD src1_sel:WORD_1
	v_fma_f16 v35, v35, v13, -v108
	v_fma_f16 v84, v84, v13, v109
	v_fma_f16 v37, v37, v15, -v112
	v_fma_f16 v91, v91, v15, v113
	;; [unrolled: 2-line block ×4, first 2 shown]
	v_fma_f16 v105, v81, v26, -v105
	v_mul_f16_sdwa v81, v81, v26 dst_sel:DWORD dst_unused:UNUSED_PAD src0_sel:DWORD src1_sel:WORD_1
	v_mul_f16_sdwa v110, v90, v14 dst_sel:DWORD dst_unused:UNUSED_PAD src0_sel:DWORD src1_sel:WORD_1
	;; [unrolled: 1-line block ×9, first 2 shown]
	v_fma_f16 v81, v88, v26, v81
	v_sub_f16_e32 v42, v80, v42
	v_sub_f16_e32 v88, v82, v99
	;; [unrolled: 1-line block ×8, first 2 shown]
	v_fma_f16 v83, v83, v12, v107
	v_fma_f16 v36, v36, v14, -v110
	v_fma_f16 v90, v90, v14, v111
	v_fma_f16 v38, v38, v16, -v114
	;; [unrolled: 2-line block ×4, first 2 shown]
	v_fma_f16 v100, v100, v20, v123
	v_fma_f16 v37, v37, 2.0, -v99
	v_fma_f16 v91, v91, 2.0, -v77
	;; [unrolled: 1-line block ×4, first 2 shown]
	v_sub_f16_e32 v77, v42, v77
	v_add_f16_e32 v99, v88, v99
	v_sub_f16_e32 v79, v102, v79
	v_add_f16_e32 v104, v46, v104
	v_fma_f16 v80, v80, 2.0, -v42
	v_fma_f16 v82, v82, 2.0, -v88
	;; [unrolled: 1-line block ×4, first 2 shown]
	v_sub_f16_e32 v45, v34, v45
	v_sub_f16_e32 v100, v83, v100
	;; [unrolled: 1-line block ×8, first 2 shown]
	v_fma_f16 v42, v42, 2.0, -v77
	v_fma_f16 v88, v88, 2.0, -v99
	;; [unrolled: 1-line block ×8, first 2 shown]
	v_sub_f16_e32 v78, v45, v78
	v_add_f16_e32 v103, v100, v103
	v_sub_f16_e32 v81, v101, v81
	v_add_f16_e32 v105, v76, v105
	v_fma_f16 v106, v102, s2, v42
	v_fma_f16 v107, v46, s2, v88
	v_fma_f16 v34, v34, 2.0, -v45
	v_fma_f16 v83, v83, 2.0, -v100
	;; [unrolled: 1-line block ×8, first 2 shown]
	v_fma_f16 v46, v46, s2, v106
	v_fma_f16 v102, v102, s3, v107
	;; [unrolled: 1-line block ×8, first 2 shown]
	v_sub_f16_e32 v37, v80, v37
	v_sub_f16_e32 v91, v82, v91
	;; [unrolled: 1-line block ×8, first 2 shown]
	v_fma_f16 v76, v76, s2, v106
	v_fma_f16 v101, v101, s3, v107
	v_fma_f16 v35, v35, 2.0, -v39
	v_fma_f16 v84, v84, 2.0, -v93
	;; [unrolled: 1-line block ×6, first 2 shown]
	v_sub_f16_e32 v93, v37, v93
	v_add_f16_e32 v39, v91, v39
	v_fma_f16 v45, v45, 2.0, -v76
	v_fma_f16 v100, v100, 2.0, -v101
	v_sub_f16_e32 v98, v38, v98
	v_add_f16_e32 v41, v92, v41
	v_fma_f16 v106, v81, s3, v78
	v_fma_f16 v107, v105, s3, v103
	v_fma_f16 v80, v80, 2.0, -v37
	v_fma_f16 v82, v82, 2.0, -v91
	;; [unrolled: 1-line block ×8, first 2 shown]
	v_fma_f16 v105, v105, s2, v106
	v_fma_f16 v81, v81, s3, v107
	;; [unrolled: 1-line block ×4, first 2 shown]
	v_fma_f16 v77, v77, 2.0, -v104
	v_fma_f16 v99, v99, 2.0, -v79
	;; [unrolled: 1-line block ×4, first 2 shown]
	v_fma_f16 v100, v100, s16, v106
	v_fma_f16 v45, v45, s17, v107
	;; [unrolled: 1-line block ×15, first 2 shown]
	v_sub_f16_e32 v35, v80, v35
	v_sub_f16_e32 v84, v82, v84
	;; [unrolled: 1-line block ×4, first 2 shown]
	v_fma_f16 v107, v41, s3, v39
	v_fma_f16 v41, v41, s2, v76
	;; [unrolled: 1-line block ×3, first 2 shown]
	v_fma_f16 v80, v80, 2.0, -v35
	v_fma_f16 v82, v82, 2.0, -v84
	;; [unrolled: 1-line block ×4, first 2 shown]
	v_fma_f16 v98, v98, s3, v107
	v_fma_f16 v107, v81, s18, v79
	;; [unrolled: 1-line block ×3, first 2 shown]
	v_mov_b32_e32 v76, 0x3c0
	v_cmp_lt_u16_e64 s[2:3], 59, v60
	v_sub_f16_e32 v34, v80, v34
	v_sub_f16_e32 v83, v82, v83
	v_cndmask_b32_e64 v76, 0, v76, s[2:3]
	v_fma_f16 v80, v80, 2.0, -v34
	v_fma_f16 v82, v82, 2.0, -v83
	;; [unrolled: 1-line block ×4, first 2 shown]
	v_or_b32_e32 v43, v43, v76
	v_fma_f16 v37, v37, 2.0, -v92
	v_fma_f16 v91, v91, 2.0, -v38
	;; [unrolled: 1-line block ×4, first 2 shown]
	v_sub_f16_e32 v90, v35, v90
	v_add_f16_e32 v36, v84, v36
	v_add_lshl_u32 v76, v65, v43, 2
	v_pack_b32_f16 v43, v80, v82
	v_pack_b32_f16 v42, v42, v88
	v_fma_f16 v35, v35, 2.0, -v90
	v_fma_f16 v84, v84, 2.0, -v36
	;; [unrolled: 1-line block ×4, first 2 shown]
	v_fma_f16 v105, v105, s17, v107
	ds_write2_b32 v76, v43, v42 offset1:60
	v_pack_b32_f16 v37, v37, v91
	v_pack_b32_f16 v42, v77, v99
	v_fma_f16 v93, v93, 2.0, -v41
	v_fma_f16 v39, v39, 2.0, -v98
	;; [unrolled: 1-line block ×4, first 2 shown]
	ds_write2_b32 v76, v37, v42 offset0:120 offset1:180
	v_pack_b32_f16 v35, v35, v84
	v_pack_b32_f16 v37, v46, v102
	v_add_u32_e32 v42, 0x200, v76
	ds_write2_b32 v42, v35, v37 offset0:112 offset1:172
	v_pack_b32_f16 v35, v93, v39
	v_pack_b32_f16 v37, v104, v79
	v_add_u32_e32 v39, 0x400, v76
	ds_write2_b32 v39, v35, v37 offset0:104 offset1:164
	v_pack_b32_f16 v34, v34, v83
	v_pack_b32_f16 v35, v100, v45
	v_add_u32_e32 v37, 0x600, v76
	ds_write2_b32 v37, v34, v35 offset0:96 offset1:156
	v_pack_b32_f16 v34, v92, v38
	v_pack_b32_f16 v35, v103, v78
	v_add_u32_e32 v37, 0x800, v76
	ds_write2_b32 v37, v34, v35 offset0:88 offset1:148
	v_pack_b32_f16 v34, v90, v36
	v_pack_b32_f16 v35, v101, v106
	v_add_u32_e32 v36, 0xa00, v76
	ds_write2_b32 v36, v34, v35 offset0:80 offset1:140
	v_pack_b32_f16 v34, v41, v98
	v_pack_b32_f16 v35, v81, v105
	v_add_u32_e32 v36, 0xc00, v76
	v_lshlrev_b32_e32 v43, 2, v60
	ds_write2_b32 v36, v34, v35 offset0:72 offset1:132
	s_waitcnt lgkmcnt(0)
	s_barrier
	global_load_dword v77, v43, s[4:5] offset:3800
	v_add_co_u32_e64 v34, s[2:3], s4, v43
	v_addc_co_u32_e64 v35, s[2:3], 0, v47, s[2:3]
	v_add_co_u32_e64 v34, s[2:3], s12, v34
	v_addc_co_u32_e64 v35, s[2:3], 0, v35, s[2:3]
	global_load_dword v78, v[34:35], off offset:184
	global_load_dword v79, v[34:35], off offset:664
	;; [unrolled: 1-line block ×7, first 2 shown]
	ds_read_b32 v36, v64
	ds_read2_b32 v[37:38], v96 offset0:72 offset1:192
	ds_read2_b32 v[34:35], v48 offset0:120 offset1:240
	;; [unrolled: 1-line block ×3, first 2 shown]
	ds_read_b32 v39, v48 offset:7200
	ds_read2_b32 v[87:88], v87 offset0:40 offset1:160
	s_waitcnt lgkmcnt(4)
	v_lshrrev_b32_e32 v98, 16, v38
	ds_read2_b32 v[45:46], v94 offset0:104 offset1:224
	s_waitcnt lgkmcnt(3)
	v_lshrrev_b32_e32 v100, 16, v41
	v_lshrrev_b32_e32 v102, 16, v42
	ds_read2_b32 v[90:91], v95 offset0:88 offset1:208
	ds_read2_b32 v[92:93], v89 offset0:24 offset1:144
	s_waitcnt lgkmcnt(3)
	v_lshrrev_b32_e32 v89, 16, v87
	v_lshrrev_b32_e32 v105, 16, v88
	;; [unrolled: 1-line block ×4, first 2 shown]
	s_waitcnt lgkmcnt(0)
	v_lshrrev_b32_e32 v107, 16, v92
	v_lshrrev_b32_e32 v109, 16, v93
	;; [unrolled: 1-line block ×9, first 2 shown]
	s_add_u32 s4, s14, 0x1e00
	s_addc_u32 s5, s15, 0
	s_waitcnt vmcnt(7)
	v_mul_f16_sdwa v112, v98, v77 dst_sel:DWORD dst_unused:UNUSED_PAD src0_sel:DWORD src1_sel:WORD_1
	v_fma_f16 v112, v38, v77, -v112
	v_mul_f16_sdwa v38, v38, v77 dst_sel:DWORD dst_unused:UNUSED_PAD src0_sel:DWORD src1_sel:WORD_1
	v_fma_f16 v38, v98, v77, v38
	s_waitcnt vmcnt(6)
	v_mul_f16_sdwa v98, v100, v78 dst_sel:DWORD dst_unused:UNUSED_PAD src0_sel:DWORD src1_sel:WORD_1
	v_fma_f16 v98, v41, v78, -v98
	v_mul_f16_sdwa v41, v41, v78 dst_sel:DWORD dst_unused:UNUSED_PAD src0_sel:DWORD src1_sel:WORD_1
	v_fma_f16 v41, v100, v78, v41
	;; [unrolled: 5-line block ×6, first 2 shown]
	s_waitcnt vmcnt(1)
	v_mul_f16_sdwa v107, v109, v83 dst_sel:DWORD dst_unused:UNUSED_PAD src0_sel:DWORD src1_sel:WORD_1
	v_fma_f16 v107, v93, v83, -v107
	v_mul_f16_sdwa v93, v93, v83 dst_sel:DWORD dst_unused:UNUSED_PAD src0_sel:DWORD src1_sel:WORD_1
	v_sub_f16_e32 v112, v36, v112
	v_sub_f16_e32 v113, v47, v38
	;; [unrolled: 1-line block ×6, first 2 shown]
	v_fma_f16 v93, v109, v83, v93
	s_waitcnt vmcnt(0)
	v_mul_f16_sdwa v109, v111, v84 dst_sel:DWORD dst_unused:UNUSED_PAD src0_sel:DWORD src1_sel:WORD_1
	v_fma_f16 v114, v36, 2.0, -v112
	v_fma_f16 v47, v47, 2.0, -v113
	;; [unrolled: 1-line block ×6, first 2 shown]
	v_sub_f16_e32 v102, v45, v102
	v_sub_f16_e32 v117, v103, v87
	;; [unrolled: 1-line block ×4, first 2 shown]
	v_fma_f16 v109, v39, v84, -v109
	v_mul_f16_sdwa v39, v39, v84 dst_sel:DWORD dst_unused:UNUSED_PAD src0_sel:DWORD src1_sel:WORD_1
	v_fma_f16 v45, v45, 2.0, -v102
	v_fma_f16 v103, v103, 2.0, -v117
	;; [unrolled: 1-line block ×4, first 2 shown]
	v_sub_f16_e32 v38, v90, v105
	v_sub_f16_e32 v87, v106, v92
	;; [unrolled: 1-line block ×4, first 2 shown]
	v_pack_b32_f16 v47, v114, v47
	v_pack_b32_f16 v93, v115, v99
	;; [unrolled: 1-line block ×5, first 2 shown]
	v_fma_f16 v111, v111, v84, v39
	v_fma_f16 v34, v90, 2.0, -v38
	v_fma_f16 v90, v106, 2.0, -v87
	;; [unrolled: 1-line block ×4, first 2 shown]
	ds_write_b32 v64, v47
	ds_write2_b32 v48, v93, v98 offset0:120 offset1:240
	ds_write2_b32 v97, v41, v42 offset0:56 offset1:176
	v_pack_b32_f16 v41, v45, v103
	v_pack_b32_f16 v42, v102, v117
	;; [unrolled: 1-line block ×4, first 2 shown]
	v_add_u32_e32 v93, 0x1480, v48
	v_sub_f16_e32 v35, v37, v109
	v_sub_f16_e32 v89, v110, v111
	ds_write2_b32 v94, v41, v45 offset0:104 offset1:224
	v_pack_b32_f16 v45, v34, v90
	ds_write2_b32 v93, v42, v46 offset0:8 offset1:248
	v_pack_b32_f16 v42, v39, v91
	v_fma_f16 v37, v37, 2.0, -v35
	v_fma_f16 v92, v110, 2.0, -v89
	v_pack_b32_f16 v41, v118, v119
	ds_write2_b32 v95, v45, v42 offset0:88 offset1:208
	v_pack_b32_f16 v42, v36, v88
	v_add_u32_e32 v45, 0x1680, v48
	v_pack_b32_f16 v47, v112, v113
	ds_write2_b32 v45, v41, v42 offset1:240
	v_pack_b32_f16 v41, v37, v92
	ds_write2_b32 v96, v41, v47 offset0:72 offset1:192
	v_pack_b32_f16 v41, v35, v89
	ds_write_b32 v48, v41 offset:7200
	s_waitcnt lgkmcnt(0)
	s_barrier
	global_load_dword v45, v43, s[4:5]
	global_load_dword v46, v43, s[4:5] offset:768
	global_load_dword v93, v43, s[4:5] offset:1536
	;; [unrolled: 1-line block ×5, first 2 shown]
	global_load_dword v97, v40, s[4:5]
	v_mov_b32_e32 v41, s5
	v_add_co_u32_e64 v42, s[2:3], s4, v43
	v_addc_co_u32_e64 v43, s[2:3], 0, v41, s[2:3]
	v_add_co_u32_e64 v40, s[2:3], s12, v42
	v_addc_co_u32_e64 v41, s[2:3], 0, v43, s[2:3]
	global_load_dword v98, v[40:41], off offset:1280
	global_load_dword v99, v44, s[4:5]
	global_load_dword v100, v[40:41], off offset:2816
	ds_read_b32 v44, v64
	s_waitcnt lgkmcnt(0)
	v_lshrrev_b32_e32 v47, 16, v44
	s_waitcnt vmcnt(9)
	v_mul_f16_sdwa v101, v47, v45 dst_sel:DWORD dst_unused:UNUSED_PAD src0_sel:DWORD src1_sel:WORD_1
	v_fma_f16 v101, v44, v45, -v101
	v_mul_f16_sdwa v44, v44, v45 dst_sel:DWORD dst_unused:UNUSED_PAD src0_sel:DWORD src1_sel:WORD_1
	v_fma_f16 v44, v47, v45, v44
	v_pack_b32_f16 v44, v101, v44
	ds_write_b32 v64, v44
	ds_read2st64_b32 v[44:45], v48 offset0:3 offset1:6
	s_waitcnt lgkmcnt(0)
	v_lshrrev_b32_e32 v47, 16, v44
	s_waitcnt vmcnt(8)
	v_mul_f16_sdwa v101, v47, v46 dst_sel:DWORD dst_unused:UNUSED_PAD src0_sel:DWORD src1_sel:WORD_1
	v_fma_f16 v101, v44, v46, -v101
	v_mul_f16_sdwa v44, v44, v46 dst_sel:DWORD dst_unused:UNUSED_PAD src0_sel:DWORD src1_sel:WORD_1
	v_fma_f16 v44, v47, v46, v44
	v_pack_b32_f16 v44, v101, v44
	v_lshrrev_b32_e32 v101, 16, v45
	s_waitcnt vmcnt(7)
	v_mul_f16_sdwa v46, v101, v93 dst_sel:DWORD dst_unused:UNUSED_PAD src0_sel:DWORD src1_sel:WORD_1
	v_fma_f16 v102, v45, v93, -v46
	ds_read2st64_b32 v[46:47], v48 offset0:9 offset1:12
	v_mul_f16_sdwa v45, v45, v93 dst_sel:DWORD dst_unused:UNUSED_PAD src0_sel:DWORD src1_sel:WORD_1
	v_fma_f16 v45, v101, v93, v45
	v_pack_b32_f16 v45, v102, v45
	ds_write2st64_b32 v48, v44, v45 offset0:3 offset1:6
	s_waitcnt lgkmcnt(1)
	v_lshrrev_b32_e32 v44, 16, v46
	s_waitcnt vmcnt(6)
	v_mul_f16_sdwa v45, v44, v94 dst_sel:DWORD dst_unused:UNUSED_PAD src0_sel:DWORD src1_sel:WORD_1
	v_fma_f16 v45, v46, v94, -v45
	v_mul_f16_sdwa v46, v46, v94 dst_sel:DWORD dst_unused:UNUSED_PAD src0_sel:DWORD src1_sel:WORD_1
	v_fma_f16 v44, v44, v94, v46
	v_lshrrev_b32_e32 v93, 16, v47
	v_pack_b32_f16 v46, v45, v44
	s_waitcnt vmcnt(5)
	v_mul_f16_sdwa v44, v93, v95 dst_sel:DWORD dst_unused:UNUSED_PAD src0_sel:DWORD src1_sel:WORD_1
	v_fma_f16 v94, v47, v95, -v44
	ds_read2st64_b32 v[44:45], v48 offset0:15 offset1:18
	v_mul_f16_sdwa v47, v47, v95 dst_sel:DWORD dst_unused:UNUSED_PAD src0_sel:DWORD src1_sel:WORD_1
	v_fma_f16 v47, v93, v95, v47
	v_pack_b32_f16 v47, v94, v47
	ds_write2st64_b32 v48, v46, v47 offset0:9 offset1:12
	s_waitcnt lgkmcnt(1)
	v_lshrrev_b32_e32 v46, 16, v44
	s_waitcnt vmcnt(4)
	v_mul_f16_sdwa v47, v46, v96 dst_sel:DWORD dst_unused:UNUSED_PAD src0_sel:DWORD src1_sel:WORD_1
	v_fma_f16 v47, v44, v96, -v47
	v_mul_f16_sdwa v44, v44, v96 dst_sel:DWORD dst_unused:UNUSED_PAD src0_sel:DWORD src1_sel:WORD_1
	v_lshrrev_b32_e32 v93, 16, v45
	v_fma_f16 v44, v46, v96, v44
	s_waitcnt vmcnt(3)
	v_mul_f16_sdwa v46, v93, v97 dst_sel:DWORD dst_unused:UNUSED_PAD src0_sel:DWORD src1_sel:WORD_1
	v_pack_b32_f16 v44, v47, v44
	v_fma_f16 v94, v45, v97, -v46
	ds_read2st64_b32 v[46:47], v48 offset0:21 offset1:24
	v_mul_f16_sdwa v45, v45, v97 dst_sel:DWORD dst_unused:UNUSED_PAD src0_sel:DWORD src1_sel:WORD_1
	v_fma_f16 v45, v93, v97, v45
	v_pack_b32_f16 v45, v94, v45
	ds_write2st64_b32 v48, v44, v45 offset0:15 offset1:18
	s_waitcnt lgkmcnt(1)
	v_lshrrev_b32_e32 v44, 16, v46
	s_waitcnt vmcnt(2)
	v_mul_f16_sdwa v45, v44, v98 dst_sel:DWORD dst_unused:UNUSED_PAD src0_sel:DWORD src1_sel:WORD_1
	v_fma_f16 v45, v46, v98, -v45
	v_mul_f16_sdwa v46, v46, v98 dst_sel:DWORD dst_unused:UNUSED_PAD src0_sel:DWORD src1_sel:WORD_1
	v_fma_f16 v44, v44, v98, v46
	v_pack_b32_f16 v44, v45, v44
	v_lshrrev_b32_e32 v45, 16, v47
	ds_read_b32 v93, v48 offset:6912
	s_waitcnt vmcnt(1)
	v_mul_f16_sdwa v46, v45, v99 dst_sel:DWORD dst_unused:UNUSED_PAD src0_sel:DWORD src1_sel:WORD_1
	v_fma_f16 v46, v47, v99, -v46
	v_mul_f16_sdwa v47, v47, v99 dst_sel:DWORD dst_unused:UNUSED_PAD src0_sel:DWORD src1_sel:WORD_1
	v_fma_f16 v45, v45, v99, v47
	v_pack_b32_f16 v45, v46, v45
	ds_write2st64_b32 v48, v44, v45 offset0:21 offset1:24
	s_waitcnt lgkmcnt(1)
	v_lshrrev_b32_e32 v44, 16, v93
	s_waitcnt vmcnt(0)
	v_mul_f16_sdwa v45, v44, v100 dst_sel:DWORD dst_unused:UNUSED_PAD src0_sel:DWORD src1_sel:WORD_1
	v_mul_f16_sdwa v46, v93, v100 dst_sel:DWORD dst_unused:UNUSED_PAD src0_sel:DWORD src1_sel:WORD_1
	v_fma_f16 v45, v93, v100, -v45
	v_fma_f16 v44, v44, v100, v46
	v_pack_b32_f16 v44, v45, v44
	ds_write_b32 v48, v44 offset:6912
	s_and_saveexec_b64 s[2:3], s[0:1]
	s_cbranch_execz .LBB0_13
; %bb.12:
	global_load_dword v93, v[42:43], off offset:480
	v_add_u32_e32 v46, 0xe0, v48
	ds_read2st64_b32 v[44:45], v46 offset0:1 offset1:4
	s_waitcnt lgkmcnt(0)
	v_lshrrev_b32_e32 v47, 16, v44
	s_waitcnt vmcnt(0)
	v_mul_f16_sdwa v94, v47, v93 dst_sel:DWORD dst_unused:UNUSED_PAD src0_sel:DWORD src1_sel:WORD_1
	v_fma_f16 v94, v44, v93, -v94
	v_mul_f16_sdwa v44, v44, v93 dst_sel:DWORD dst_unused:UNUSED_PAD src0_sel:DWORD src1_sel:WORD_1
	v_fma_f16 v44, v47, v93, v44
	global_load_dword v93, v[42:43], off offset:1248
	v_lshrrev_b32_e32 v47, 16, v45
	v_pack_b32_f16 v44, v94, v44
	s_waitcnt vmcnt(0)
	v_mul_f16_sdwa v94, v47, v93 dst_sel:DWORD dst_unused:UNUSED_PAD src0_sel:DWORD src1_sel:WORD_1
	v_fma_f16 v94, v45, v93, -v94
	v_mul_f16_sdwa v45, v45, v93 dst_sel:DWORD dst_unused:UNUSED_PAD src0_sel:DWORD src1_sel:WORD_1
	v_fma_f16 v45, v47, v93, v45
	global_load_dword v93, v[42:43], off offset:2016
	v_pack_b32_f16 v45, v94, v45
	ds_write2st64_b32 v46, v44, v45 offset0:1 offset1:4
	ds_read2st64_b32 v[44:45], v46 offset0:7 offset1:10
	s_waitcnt lgkmcnt(0)
	v_lshrrev_b32_e32 v47, 16, v44
	s_waitcnt vmcnt(0)
	v_mul_f16_sdwa v94, v47, v93 dst_sel:DWORD dst_unused:UNUSED_PAD src0_sel:DWORD src1_sel:WORD_1
	v_fma_f16 v94, v44, v93, -v94
	v_mul_f16_sdwa v44, v44, v93 dst_sel:DWORD dst_unused:UNUSED_PAD src0_sel:DWORD src1_sel:WORD_1
	v_fma_f16 v44, v47, v93, v44
	global_load_dword v93, v[42:43], off offset:2784
	v_lshrrev_b32_e32 v47, 16, v45
	global_load_dword v42, v[42:43], off offset:3552
	v_pack_b32_f16 v44, v94, v44
	s_waitcnt vmcnt(1)
	v_mul_f16_sdwa v94, v47, v93 dst_sel:DWORD dst_unused:UNUSED_PAD src0_sel:DWORD src1_sel:WORD_1
	v_fma_f16 v94, v45, v93, -v94
	v_mul_f16_sdwa v45, v45, v93 dst_sel:DWORD dst_unused:UNUSED_PAD src0_sel:DWORD src1_sel:WORD_1
	v_fma_f16 v45, v47, v93, v45
	v_pack_b32_f16 v45, v94, v45
	ds_write2st64_b32 v46, v44, v45 offset0:7 offset1:10
	ds_read2st64_b32 v[44:45], v46 offset0:13 offset1:16
	s_waitcnt lgkmcnt(0)
	v_lshrrev_b32_e32 v47, 16, v44
	s_waitcnt vmcnt(0)
	v_mul_f16_sdwa v43, v47, v42 dst_sel:DWORD dst_unused:UNUSED_PAD src0_sel:DWORD src1_sel:WORD_1
	v_fma_f16 v43, v44, v42, -v43
	v_mul_f16_sdwa v44, v44, v42 dst_sel:DWORD dst_unused:UNUSED_PAD src0_sel:DWORD src1_sel:WORD_1
	v_fma_f16 v42, v47, v42, v44
	global_load_dword v44, v[40:41], off offset:224
	v_pack_b32_f16 v42, v43, v42
	v_lshrrev_b32_e32 v43, 16, v45
	s_waitcnt vmcnt(0)
	v_mul_f16_sdwa v47, v43, v44 dst_sel:DWORD dst_unused:UNUSED_PAD src0_sel:DWORD src1_sel:WORD_1
	v_fma_f16 v47, v45, v44, -v47
	v_mul_f16_sdwa v45, v45, v44 dst_sel:DWORD dst_unused:UNUSED_PAD src0_sel:DWORD src1_sel:WORD_1
	v_fma_f16 v43, v43, v44, v45
	global_load_dword v45, v[40:41], off offset:992
	v_pack_b32_f16 v43, v47, v43
	ds_write2st64_b32 v46, v42, v43 offset0:13 offset1:16
	ds_read2st64_b32 v[42:43], v46 offset0:19 offset1:22
	s_waitcnt lgkmcnt(0)
	v_lshrrev_b32_e32 v44, 16, v42
	s_waitcnt vmcnt(0)
	v_mul_f16_sdwa v47, v44, v45 dst_sel:DWORD dst_unused:UNUSED_PAD src0_sel:DWORD src1_sel:WORD_1
	v_fma_f16 v47, v42, v45, -v47
	v_mul_f16_sdwa v42, v42, v45 dst_sel:DWORD dst_unused:UNUSED_PAD src0_sel:DWORD src1_sel:WORD_1
	v_fma_f16 v42, v44, v45, v42
	global_load_dword v45, v[40:41], off offset:1760
	v_lshrrev_b32_e32 v44, 16, v43
	v_pack_b32_f16 v42, v47, v42
	s_waitcnt vmcnt(0)
	v_mul_f16_sdwa v47, v44, v45 dst_sel:DWORD dst_unused:UNUSED_PAD src0_sel:DWORD src1_sel:WORD_1
	v_fma_f16 v47, v43, v45, -v47
	v_mul_f16_sdwa v43, v43, v45 dst_sel:DWORD dst_unused:UNUSED_PAD src0_sel:DWORD src1_sel:WORD_1
	v_fma_f16 v43, v44, v45, v43
	global_load_dword v45, v[40:41], off offset:2528
	v_pack_b32_f16 v43, v47, v43
	global_load_dword v40, v[40:41], off offset:3296
	ds_write2st64_b32 v46, v42, v43 offset0:19 offset1:22
	ds_read2st64_b32 v[42:43], v46 offset0:25 offset1:28
	s_waitcnt lgkmcnt(0)
	v_lshrrev_b32_e32 v44, 16, v42
	s_waitcnt vmcnt(1)
	v_mul_f16_sdwa v47, v44, v45 dst_sel:DWORD dst_unused:UNUSED_PAD src0_sel:DWORD src1_sel:WORD_1
	v_fma_f16 v47, v42, v45, -v47
	v_mul_f16_sdwa v42, v42, v45 dst_sel:DWORD dst_unused:UNUSED_PAD src0_sel:DWORD src1_sel:WORD_1
	v_fma_f16 v42, v44, v45, v42
	v_lshrrev_b32_e32 v44, 16, v43
	s_waitcnt vmcnt(0)
	v_mul_f16_sdwa v41, v44, v40 dst_sel:DWORD dst_unused:UNUSED_PAD src0_sel:DWORD src1_sel:WORD_1
	v_fma_f16 v41, v43, v40, -v41
	v_mul_f16_sdwa v43, v43, v40 dst_sel:DWORD dst_unused:UNUSED_PAD src0_sel:DWORD src1_sel:WORD_1
	v_fma_f16 v40, v44, v40, v43
	v_pack_b32_f16 v42, v47, v42
	v_pack_b32_f16 v40, v41, v40
	ds_write2st64_b32 v46, v42, v40 offset0:25 offset1:28
.LBB0_13:
	s_or_b64 exec, exec, s[2:3]
	s_waitcnt lgkmcnt(0)
	s_barrier
	ds_read2st64_b32 v[46:47], v48 offset0:3 offset1:6
	ds_read2st64_b32 v[40:41], v48 offset0:9 offset1:12
	;; [unrolled: 1-line block ×4, first 2 shown]
	ds_read_b32 v94, v64
	ds_read_b32 v93, v48 offset:6912
	s_and_saveexec_b64 s[2:3], s[0:1]
	s_cbranch_execz .LBB0_15
; %bb.14:
	v_add_u32_e32 v30, 0xe0, v48
	ds_read2st64_b32 v[34:35], v30 offset0:1 offset1:16
	v_lshlrev_b32_e32 v30, 2, v65
	v_lshl_add_u32 v30, v60, 2, v30
	v_add_u32_e32 v30, 0xe0, v30
	ds_read2st64_b32 v[38:39], v30 offset0:4 offset1:7
	ds_read2st64_b32 v[36:37], v30 offset0:10 offset1:13
	ds_read2st64_b32 v[32:33], v30 offset0:19 offset1:22
	ds_read2st64_b32 v[30:31], v30 offset0:25 offset1:28
	s_waitcnt lgkmcnt(4)
	v_lshrrev_b32_e32 v90, 16, v34
	s_waitcnt lgkmcnt(3)
	v_lshrrev_b32_e32 v87, 16, v38
	v_lshrrev_b32_e32 v91, 16, v39
	s_waitcnt lgkmcnt(2)
	v_lshrrev_b32_e32 v88, 16, v36
	v_lshrrev_b32_e32 v92, 16, v37
	;; [unrolled: 1-line block ×3, first 2 shown]
	s_waitcnt lgkmcnt(1)
	v_lshrrev_b32_e32 v86, 16, v32
	v_lshrrev_b32_e32 v85, 16, v33
	s_waitcnt lgkmcnt(0)
	v_lshrrev_b32_e32 v73, 16, v30
	v_lshrrev_b32_e32 v71, 16, v31
.LBB0_15:
	s_or_b64 exec, exec, s[2:3]
	s_waitcnt lgkmcnt(3)
	v_add_f16_e32 v95, v41, v43
	s_waitcnt lgkmcnt(1)
	v_fma_f16 v95, v95, -0.5, v94
	v_sub_f16_sdwa v96, v47, v45 dst_sel:DWORD dst_unused:UNUSED_PAD src0_sel:WORD_1 src1_sel:WORD_1
	s_mov_b32 s12, 0xbb9c
	s_movk_i32 s3, 0x3b9c
	v_fma_f16 v97, v96, s12, v95
	v_sub_f16_sdwa v98, v41, v43 dst_sel:DWORD dst_unused:UNUSED_PAD src0_sel:WORD_1 src1_sel:WORD_1
	s_mov_b32 s4, 0xb8b4
	v_sub_f16_e32 v100, v45, v43
	v_sub_f16_e32 v101, v47, v41
	v_fma_f16 v95, v96, s3, v95
	s_movk_i32 s2, 0x38b4
	v_fma_f16 v97, v98, s4, v97
	v_add_f16_e32 v100, v101, v100
	s_movk_i32 s5, 0x34f2
	v_fma_f16 v95, v98, s2, v95
	v_fma_f16 v97, v100, s5, v97
	;; [unrolled: 1-line block ×3, first 2 shown]
	v_add_f16_e32 v100, v47, v45
	v_fma_f16 v100, v100, -0.5, v94
	v_fma_f16 v101, v98, s3, v100
	v_fma_f16 v98, v98, s12, v100
	v_pk_add_f16 v99, v94, v47
	v_fma_f16 v101, v96, s4, v101
	v_sub_f16_e32 v102, v43, v45
	v_sub_f16_e32 v103, v41, v47
	v_fma_f16 v96, v96, s2, v98
	v_add_f16_sdwa v98, v41, v43 dst_sel:DWORD dst_unused:UNUSED_PAD src0_sel:WORD_1 src1_sel:WORD_1
	v_lshrrev_b32_e32 v94, 16, v94
	v_add_f16_e32 v102, v103, v102
	v_fma_f16 v98, v98, -0.5, v94
	v_sub_f16_e32 v100, v47, v45
	v_fma_f16 v101, v102, s5, v101
	v_fma_f16 v96, v102, s5, v96
	;; [unrolled: 1-line block ×3, first 2 shown]
	v_sub_f16_e32 v103, v41, v43
	v_sub_f16_sdwa v104, v47, v41 dst_sel:DWORD dst_unused:UNUSED_PAD src0_sel:WORD_1 src1_sel:WORD_1
	v_sub_f16_sdwa v105, v45, v43 dst_sel:DWORD dst_unused:UNUSED_PAD src0_sel:WORD_1 src1_sel:WORD_1
	v_fma_f16 v98, v100, s12, v98
	v_fma_f16 v102, v103, s2, v102
	v_add_f16_e32 v104, v104, v105
	v_fma_f16 v98, v103, s4, v98
	v_fma_f16 v102, v104, s5, v102
	;; [unrolled: 1-line block ×3, first 2 shown]
	v_add_f16_sdwa v104, v47, v45 dst_sel:DWORD dst_unused:UNUSED_PAD src0_sel:WORD_1 src1_sel:WORD_1
	v_fma_f16 v94, v104, -0.5, v94
	v_fma_f16 v104, v103, s12, v94
	v_sub_f16_sdwa v47, v41, v47 dst_sel:DWORD dst_unused:UNUSED_PAD src0_sel:WORD_1 src1_sel:WORD_1
	v_sub_f16_sdwa v105, v43, v45 dst_sel:DWORD dst_unused:UNUSED_PAD src0_sel:WORD_1 src1_sel:WORD_1
	v_fma_f16 v94, v103, s3, v94
	v_fma_f16 v104, v100, s2, v104
	v_add_f16_e32 v47, v47, v105
	v_fma_f16 v94, v100, s4, v94
	v_fma_f16 v104, v47, s5, v104
	;; [unrolled: 1-line block ×3, first 2 shown]
	v_add_f16_e32 v94, v42, v44
	v_fma_f16 v94, v94, -0.5, v46
	s_waitcnt lgkmcnt(0)
	v_sub_f16_sdwa v103, v40, v93 dst_sel:DWORD dst_unused:UNUSED_PAD src0_sel:WORD_1 src1_sel:WORD_1
	v_fma_f16 v105, v103, s12, v94
	v_sub_f16_sdwa v106, v42, v44 dst_sel:DWORD dst_unused:UNUSED_PAD src0_sel:WORD_1 src1_sel:WORD_1
	v_sub_f16_e32 v107, v93, v44
	v_sub_f16_e32 v108, v40, v42
	v_fma_f16 v94, v103, s3, v94
	v_fma_f16 v105, v106, s4, v105
	v_add_f16_e32 v107, v108, v107
	v_fma_f16 v94, v106, s2, v94
	v_fma_f16 v105, v107, s5, v105
	;; [unrolled: 1-line block ×3, first 2 shown]
	v_add_f16_e32 v107, v40, v93
	v_fma_f16 v107, v107, -0.5, v46
	v_fma_f16 v108, v106, s3, v107
	v_fma_f16 v106, v106, s12, v107
	v_pk_add_f16 v100, v46, v40
	v_fma_f16 v108, v103, s4, v108
	v_sub_f16_e32 v109, v44, v93
	v_sub_f16_e32 v110, v42, v40
	v_fma_f16 v103, v103, s2, v106
	v_add_f16_sdwa v106, v42, v44 dst_sel:DWORD dst_unused:UNUSED_PAD src0_sel:WORD_1 src1_sel:WORD_1
	v_lshrrev_b32_e32 v46, 16, v46
	v_add_f16_e32 v109, v110, v109
	v_fma_f16 v106, v106, -0.5, v46
	v_sub_f16_e32 v107, v40, v93
	v_fma_f16 v108, v109, s5, v108
	v_fma_f16 v103, v109, s5, v103
	;; [unrolled: 1-line block ×3, first 2 shown]
	v_sub_f16_e32 v110, v42, v44
	v_sub_f16_sdwa v111, v40, v42 dst_sel:DWORD dst_unused:UNUSED_PAD src0_sel:WORD_1 src1_sel:WORD_1
	v_sub_f16_sdwa v112, v93, v44 dst_sel:DWORD dst_unused:UNUSED_PAD src0_sel:WORD_1 src1_sel:WORD_1
	v_fma_f16 v106, v107, s12, v106
	v_fma_f16 v109, v110, s2, v109
	v_add_f16_e32 v111, v111, v112
	v_fma_f16 v106, v110, s4, v106
	v_fma_f16 v109, v111, s5, v109
	;; [unrolled: 1-line block ×3, first 2 shown]
	v_add_f16_sdwa v111, v40, v93 dst_sel:DWORD dst_unused:UNUSED_PAD src0_sel:WORD_1 src1_sel:WORD_1
	v_fma_f16 v46, v111, -0.5, v46
	v_fma_f16 v111, v110, s12, v46
	v_sub_f16_sdwa v40, v42, v40 dst_sel:DWORD dst_unused:UNUSED_PAD src0_sel:WORD_1 src1_sel:WORD_1
	v_sub_f16_sdwa v112, v44, v93 dst_sel:DWORD dst_unused:UNUSED_PAD src0_sel:WORD_1 src1_sel:WORD_1
	v_fma_f16 v46, v110, s3, v46
	v_fma_f16 v111, v107, s2, v111
	v_add_f16_e32 v40, v40, v112
	v_fma_f16 v46, v107, s4, v46
	v_fma_f16 v111, v40, s5, v111
	v_fma_f16 v40, v40, s5, v46
	v_mul_f16_e32 v46, 0xb8b4, v109
	s_movk_i32 s13, 0x3a79
	v_fma_f16 v46, v105, s13, v46
	v_mul_f16_e32 v110, 0xbb9c, v111
	v_mul_f16_e32 v113, 0xbb9c, v40
	;; [unrolled: 1-line block ×3, first 2 shown]
	s_mov_b32 s15, 0xba79
	v_mul_f16_e32 v105, 0x38b4, v105
	v_mul_f16_e32 v111, 0x34f2, v111
	;; [unrolled: 1-line block ×4, first 2 shown]
	v_add_f16_e32 v107, v97, v46
	v_fma_f16 v110, v108, s5, v110
	s_mov_b32 s14, 0xb4f2
	v_fma_f16 v115, v94, s15, v115
	v_fma_f16 v105, v109, s13, v105
	;; [unrolled: 1-line block ×5, first 2 shown]
	v_sub_f16_e32 v117, v97, v46
	v_add_f16_e32 v46, v32, v37
	v_fma_f16 v113, v103, s14, v113
	v_add_f16_e32 v109, v102, v105
	v_add_f16_e32 v111, v104, v108
	;; [unrolled: 1-line block ×4, first 2 shown]
	v_sub_f16_e32 v102, v102, v105
	v_sub_f16_e32 v104, v104, v108
	;; [unrolled: 1-line block ×4, first 2 shown]
	v_fma_f16 v47, v46, -0.5, v34
	v_sub_f16_e32 v94, v91, v73
	v_add_f16_e32 v112, v101, v110
	v_add_f16_e32 v114, v96, v113
	;; [unrolled: 1-line block ×3, first 2 shown]
	v_sub_f16_e32 v101, v101, v110
	v_sub_f16_e32 v110, v96, v113
	v_sub_f16_e32 v113, v95, v115
	v_fma_f16 v46, v94, s12, v47
	v_sub_f16_e32 v95, v92, v86
	v_sub_f16_e32 v96, v39, v37
	;; [unrolled: 1-line block ×3, first 2 shown]
	v_fma_f16 v47, v94, s3, v47
	v_fma_f16 v46, v95, s4, v46
	v_add_f16_e32 v96, v97, v96
	v_fma_f16 v47, v95, s2, v47
	v_fma_f16 v46, v96, s5, v46
	;; [unrolled: 1-line block ×3, first 2 shown]
	v_add_f16_e32 v96, v30, v39
	v_add_f16_e32 v40, v39, v34
	v_fma_f16 v34, v96, -0.5, v34
	v_fma_f16 v96, v95, s3, v34
	v_sub_f16_e32 v97, v37, v39
	v_sub_f16_e32 v98, v32, v30
	v_fma_f16 v34, v95, s12, v34
	v_add_f16_e32 v97, v98, v97
	v_fma_f16 v34, v94, s2, v34
	v_fma_f16 v96, v94, s4, v96
	v_fma_f16 v94, v97, s5, v34
	v_add_f16_e32 v34, v91, v90
	v_add_f16_e32 v34, v92, v34
	;; [unrolled: 1-line block ×8, first 2 shown]
	v_fma_f16 v34, v34, -0.5, v90
	v_sub_f16_e32 v30, v39, v30
	v_fma_f16 v39, v30, s3, v34
	v_sub_f16_e32 v32, v37, v32
	v_fma_f16 v115, v97, s5, v96
	v_fma_f16 v37, v32, s2, v39
	v_sub_f16_e32 v39, v91, v92
	v_sub_f16_e32 v96, v73, v86
	v_fma_f16 v34, v30, s12, v34
	v_add_f16_e32 v39, v96, v39
	v_fma_f16 v34, v32, s4, v34
	v_fma_f16 v37, v39, s5, v37
	;; [unrolled: 1-line block ×3, first 2 shown]
	v_add_f16_e32 v34, v73, v91
	v_fma_f16 v34, v34, -0.5, v90
	v_fma_f16 v90, v32, s12, v34
	v_sub_f16_e32 v91, v92, v91
	v_sub_f16_e32 v73, v86, v73
	v_fma_f16 v32, v32, s3, v34
	v_fma_f16 v90, v30, s2, v90
	v_add_f16_e32 v73, v73, v91
	v_fma_f16 v30, v30, s4, v32
	v_fma_f16 v91, v73, s5, v30
	v_add_f16_e32 v30, v36, v38
	v_add_f16_e32 v30, v35, v30
	;; [unrolled: 1-line block ×3, first 2 shown]
	v_fma_f16 v86, v73, s5, v90
	v_add_f16_e32 v90, v31, v30
	v_add_f16_e32 v30, v33, v35
	v_fma_f16 v30, v30, -0.5, v38
	v_sub_f16_e32 v32, v88, v71
	v_fma_f16 v34, v32, s12, v30
	v_sub_f16_e32 v73, v89, v85
	v_sub_f16_e32 v92, v36, v35
	;; [unrolled: 1-line block ×3, first 2 shown]
	v_fma_f16 v30, v32, s3, v30
	v_add_f16_e32 v92, v96, v92
	v_fma_f16 v30, v73, s2, v30
	v_fma_f16 v98, v92, s5, v30
	v_add_f16_e32 v30, v31, v36
	v_fma_f16 v34, v73, s4, v34
	v_fma_f16 v30, v30, -0.5, v38
	v_fma_f16 v34, v92, s5, v34
	v_fma_f16 v38, v73, s3, v30
	v_sub_f16_e32 v92, v35, v36
	v_sub_f16_e32 v96, v33, v31
	v_fma_f16 v30, v73, s12, v30
	v_add_f16_e32 v92, v96, v92
	v_fma_f16 v30, v32, s2, v30
	v_fma_f16 v73, v92, s5, v30
	v_add_f16_e32 v30, v88, v87
	v_add_f16_e32 v30, v89, v30
	v_fma_f16 v38, v32, s4, v38
	v_add_f16_e32 v30, v85, v30
	v_fma_f16 v97, v92, s5, v38
	v_add_f16_e32 v38, v71, v30
	v_add_f16_e32 v30, v85, v89
	v_fma_f16 v30, v30, -0.5, v87
	v_sub_f16_e32 v31, v36, v31
	v_fma_f16 v32, v31, s3, v30
	v_sub_f16_e32 v33, v35, v33
	v_sub_f16_e32 v35, v88, v89
	;; [unrolled: 1-line block ×3, first 2 shown]
	v_fma_f16 v30, v31, s12, v30
	v_fma_f16 v32, v33, s2, v32
	v_add_f16_e32 v35, v36, v35
	v_fma_f16 v30, v33, s4, v30
	v_fma_f16 v96, v35, s5, v32
	;; [unrolled: 1-line block ×3, first 2 shown]
	v_add_f16_e32 v30, v71, v88
	v_fma_f16 v30, v30, -0.5, v87
	v_pk_add_f16 v41, v99, v41
	v_fma_f16 v32, v33, s12, v30
	v_sub_f16_e32 v36, v89, v88
	v_sub_f16_e32 v71, v85, v71
	v_fma_f16 v30, v33, s3, v30
	v_pk_add_f16 v41, v41, v43
	v_fma_f16 v32, v31, s2, v32
	v_add_f16_e32 v36, v71, v36
	v_fma_f16 v30, v31, s4, v30
	v_pk_add_f16 v45, v41, v45
	v_pk_add_f16 v41, v100, v42
	v_fma_f16 v71, v36, s5, v32
	v_fma_f16 v33, v36, s5, v30
	v_mul_f16_e32 v30, 0xb8b4, v96
	v_mul_f16_e32 v87, 0x3a79, v96
	v_pk_add_f16 v41, v41, v44
	v_fma_f16 v36, v34, s13, v30
	v_mul_f16_e32 v30, 0xbb9c, v71
	v_mul_f16_e32 v31, 0xbb9c, v33
	v_fma_f16 v96, v34, s2, v87
	v_mul_f16_e32 v34, 0x34f2, v71
	v_mul_f16_e32 v33, 0xb4f2, v33
	v_pk_add_f16 v93, v41, v93
	v_fma_f16 v85, v97, s5, v30
	v_mul_f16_e32 v32, 0xb8b4, v35
	v_fma_f16 v118, v97, s3, v34
	v_fma_f16 v97, v73, s3, v33
	v_mul_f16_e32 v33, 0xba79, v35
	v_pk_add_f16 v41, v45, v93
	v_pack_b32_f16 v44, v114, v103
	v_pack_b32_f16 v43, v112, v111
	;; [unrolled: 1-line block ×3, first 2 shown]
	v_fma_f16 v89, v73, s14, v31
	v_fma_f16 v92, v98, s15, v32
	;; [unrolled: 1-line block ×3, first 2 shown]
	s_barrier
	ds_write2_b64 v67, v[41:42], v[43:44] offset1:1
	v_pk_add_f16 v42, v45, v93 neg_lo:[0,1] neg_hi:[0,1]
	v_pack_b32_f16 v44, v101, v104
	v_pack_b32_f16 v43, v117, v102
	;; [unrolled: 1-line block ×3, first 2 shown]
	v_add_f16_e32 v30, v115, v85
	v_add_f16_e32 v31, v94, v89
	;; [unrolled: 1-line block ×6, first 2 shown]
	v_sub_f16_e32 v33, v40, v90
	v_sub_f16_e32 v34, v46, v36
	;; [unrolled: 1-line block ×6, first 2 shown]
	ds_write2_b64 v67, v[41:42], v[43:44] offset0:2 offset1:3
	v_pack_b32_f16 v42, v113, v108
	v_pack_b32_f16 v41, v110, v105
	ds_write_b64 v67, v[41:42] offset:32
	s_and_saveexec_b64 s[2:3], s[0:1]
	s_cbranch_execz .LBB0_17
; %bb.16:
	v_sub_f16_e32 v41, v39, v98
	v_add_f16_e32 v39, v37, v96
	v_add_f16_e32 v38, v38, v95
	;; [unrolled: 1-line block ×4, first 2 shown]
	s_mov_b32 s4, 0x5040100
	v_add_lshl_u32 v46, v65, v68, 2
	v_perm_b32 v37, v73, v31, s4
	v_perm_b32 v36, v71, v30, s4
	v_pack_b32_f16 v39, v45, v39
	v_pack_b32_f16 v38, v40, v38
	v_sub_f16_e32 v42, v91, v97
	v_sub_f16_e32 v43, v47, v92
	;; [unrolled: 1-line block ×3, first 2 shown]
	ds_write2_b64 v46, v[38:39], v[36:37] offset1:1
	v_perm_b32 v37, v86, v35, s4
	v_perm_b32 v36, v88, v34, s4
	;; [unrolled: 1-line block ×4, first 2 shown]
	ds_write2_b64 v46, v[38:39], v[36:37] offset0:2 offset1:3
	v_pack_b32_f16 v37, v43, v41
	v_pack_b32_f16 v36, v44, v42
	ds_write_b64 v46, v[36:37] offset:32
.LBB0_17:
	s_or_b64 exec, exec, s[2:3]
	v_add_u32_e32 v36, 0x180, v48
	v_add_u32_e32 v38, 0x680, v48
	;; [unrolled: 1-line block ×5, first 2 shown]
	s_waitcnt lgkmcnt(0)
	s_barrier
	ds_read2_b32 v[36:37], v36 offset0:24 offset1:224
	ds_read2_b32 v[38:39], v38 offset0:24 offset1:224
	;; [unrolled: 1-line block ×5, first 2 shown]
	ds_read_b32 v68, v64
	ds_read_b32 v89, v48 offset:6880
	s_and_saveexec_b64 s[2:3], vcc
	s_cbranch_execz .LBB0_19
; %bb.18:
	v_add_u32_e32 v34, 0xc0, v48
	ds_read2st64_b32 v[30:31], v34 offset0:3 offset1:8
	ds_read2st64_b32 v[32:33], v34 offset0:13 offset1:18
	;; [unrolled: 1-line block ×3, first 2 shown]
	s_waitcnt lgkmcnt(2)
	v_lshrrev_b32_e32 v71, 16, v30
	v_lshrrev_b32_e32 v73, 16, v31
	s_waitcnt lgkmcnt(1)
	v_lshrrev_b32_e32 v87, 16, v32
	v_lshrrev_b32_e32 v85, 16, v33
	;; [unrolled: 3-line block ×3, first 2 shown]
.LBB0_19:
	s_or_b64 exec, exec, s[2:3]
	s_waitcnt lgkmcnt(6)
	v_lshrrev_b32_e32 v91, 16, v37
	v_mul_f16_sdwa v102, v8, v91 dst_sel:DWORD dst_unused:UNUSED_PAD src0_sel:WORD_1 src1_sel:DWORD
	s_waitcnt lgkmcnt(5)
	v_lshrrev_b32_e32 v92, 16, v39
	v_fma_f16 v102, v8, v37, v102
	v_mul_f16_sdwa v37, v8, v37 dst_sel:DWORD dst_unused:UNUSED_PAD src0_sel:WORD_1 src1_sel:DWORD
	v_fma_f16 v8, v8, v91, -v37
	v_mul_f16_sdwa v37, v9, v92 dst_sel:DWORD dst_unused:UNUSED_PAD src0_sel:WORD_1 src1_sel:DWORD
	s_waitcnt lgkmcnt(4)
	v_lshrrev_b32_e32 v93, 16, v41
	v_fma_f16 v37, v9, v39, v37
	v_mul_f16_sdwa v39, v9, v39 dst_sel:DWORD dst_unused:UNUSED_PAD src0_sel:WORD_1 src1_sel:DWORD
	v_fma_f16 v9, v9, v92, -v39
	;; [unrolled: 6-line block ×4, first 2 shown]
	v_mul_f16_sdwa v43, v70, v95 dst_sel:DWORD dst_unused:UNUSED_PAD src0_sel:WORD_1 src1_sel:DWORD
	v_lshrrev_b32_e32 v97, 16, v38
	v_fma_f16 v43, v70, v45, v43
	v_mul_f16_sdwa v45, v70, v45 dst_sel:DWORD dst_unused:UNUSED_PAD src0_sel:WORD_1 src1_sel:DWORD
	v_fma_f16 v45, v70, v95, -v45
	v_mul_f16_sdwa v70, v4, v97 dst_sel:DWORD dst_unused:UNUSED_PAD src0_sel:WORD_1 src1_sel:DWORD
	v_lshrrev_b32_e32 v98, 16, v40
	v_fma_f16 v70, v4, v38, v70
	v_mul_f16_sdwa v38, v4, v38 dst_sel:DWORD dst_unused:UNUSED_PAD src0_sel:WORD_1 src1_sel:DWORD
	v_fma_f16 v4, v4, v97, -v38
	;; [unrolled: 5-line block ×4, first 2 shown]
	v_mul_f16_sdwa v42, v7, v100 dst_sel:DWORD dst_unused:UNUSED_PAD src0_sel:WORD_1 src1_sel:DWORD
	s_waitcnt lgkmcnt(0)
	v_lshrrev_b32_e32 v101, 16, v89
	v_fma_f16 v42, v7, v44, v42
	v_mul_f16_sdwa v44, v7, v44 dst_sel:DWORD dst_unused:UNUSED_PAD src0_sel:WORD_1 src1_sel:DWORD
	v_fma_f16 v7, v7, v100, -v44
	v_mul_f16_sdwa v44, v69, v101 dst_sel:DWORD dst_unused:UNUSED_PAD src0_sel:WORD_1 src1_sel:DWORD
	v_fma_f16 v44, v69, v89, v44
	v_mul_f16_sdwa v89, v69, v89 dst_sel:DWORD dst_unused:UNUSED_PAD src0_sel:WORD_1 src1_sel:DWORD
	v_add_f16_e32 v91, v37, v41
	v_lshrrev_b32_e32 v90, 16, v68
	v_fma_f16 v69, v69, v101, -v89
	v_add_f16_e32 v89, v68, v37
	v_fma_f16 v68, v91, -0.5, v68
	v_sub_f16_e32 v91, v9, v11
	s_mov_b32 s4, 0xbaee
	s_movk_i32 s5, 0x3aee
	v_fma_f16 v92, v91, s4, v68
	v_fma_f16 v68, v91, s5, v68
	v_add_f16_e32 v91, v90, v9
	v_add_f16_e32 v89, v89, v41
	;; [unrolled: 1-line block ×4, first 2 shown]
	v_sub_f16_e32 v11, v37, v41
	v_add_f16_e32 v41, v39, v43
	v_fma_f16 v9, v9, -0.5, v90
	v_fma_f16 v41, v41, -0.5, v102
	v_sub_f16_e32 v90, v10, v45
	v_fma_f16 v93, v90, s4, v41
	v_fma_f16 v41, v90, s5, v41
	v_add_f16_e32 v90, v8, v10
	v_add_f16_e32 v10, v10, v45
	v_fma_f16 v8, v10, -0.5, v8
	v_sub_f16_e32 v10, v39, v43
	v_fma_f16 v37, v11, s5, v9
	v_fma_f16 v9, v11, s4, v9
	v_add_f16_e32 v11, v102, v39
	v_fma_f16 v39, v10, s5, v8
	v_add_f16_e32 v11, v11, v43
	v_fma_f16 v8, v10, s4, v8
	v_mul_f16_e32 v43, 0xbaee, v39
	v_mul_f16_e32 v39, 0.5, v39
	v_mul_f16_e32 v94, 0xbaee, v8
	v_fma_f16 v39, v93, s5, v39
	v_mul_f16_e32 v8, -0.5, v8
	v_fma_f16 v43, v93, 0.5, v43
	v_add_f16_e32 v93, v37, v39
	v_fma_f16 v8, v41, s5, v8
	v_sub_f16_e32 v37, v37, v39
	v_add_f16_e32 v39, v38, v42
	v_lshrrev_b32_e32 v96, 16, v36
	v_add_f16_e32 v90, v90, v45
	v_fma_f16 v94, v41, -0.5, v94
	v_add_f16_e32 v41, v9, v8
	v_sub_f16_e32 v8, v9, v8
	v_add_f16_e32 v9, v36, v38
	v_fma_f16 v36, v39, -0.5, v36
	v_sub_f16_e32 v39, v5, v7
	v_add_f16_e32 v10, v89, v11
	v_add_f16_e32 v97, v91, v90
	v_sub_f16_e32 v11, v89, v11
	v_sub_f16_e32 v89, v91, v90
	v_fma_f16 v90, v39, s4, v36
	v_fma_f16 v36, v39, s5, v36
	v_add_f16_e32 v39, v96, v5
	v_add_f16_e32 v5, v5, v7
	;; [unrolled: 1-line block ×4, first 2 shown]
	v_fma_f16 v5, v5, -0.5, v96
	v_sub_f16_e32 v7, v38, v42
	v_add_f16_e32 v42, v40, v44
	v_fma_f16 v38, v7, s5, v5
	v_fma_f16 v5, v7, s4, v5
	v_add_f16_e32 v7, v70, v40
	v_fma_f16 v42, v42, -0.5, v70
	v_sub_f16_e32 v70, v6, v69
	v_fma_f16 v91, v70, s4, v42
	v_fma_f16 v42, v70, s5, v42
	v_add_f16_e32 v70, v4, v6
	v_add_f16_e32 v6, v6, v69
	v_fma_f16 v4, v6, -0.5, v4
	v_sub_f16_e32 v6, v40, v44
	v_fma_f16 v40, v6, s5, v4
	v_fma_f16 v4, v6, s4, v4
	v_add_f16_e32 v45, v92, v43
	v_sub_f16_e32 v43, v92, v43
	v_mul_f16_e32 v92, 0xbaee, v4
	v_mul_f16_e32 v4, -0.5, v4
	v_fma_f16 v4, v42, s5, v4
	v_add_f16_e32 v95, v68, v94
	v_add_f16_e32 v7, v7, v44
	v_mul_f16_e32 v44, 0xbaee, v40
	v_fma_f16 v92, v42, -0.5, v92
	v_mul_f16_e32 v40, 0.5, v40
	v_add_f16_e32 v42, v5, v4
	v_sub_f16_e32 v4, v5, v4
	v_pack_b32_f16 v5, v10, v97
	v_pack_b32_f16 v10, v45, v93
	v_sub_f16_e32 v68, v68, v94
	v_add_f16_e32 v70, v70, v69
	v_fma_f16 v44, v91, 0.5, v44
	v_fma_f16 v40, v91, s5, v40
	s_barrier
	ds_write2_b32 v74, v5, v10 offset1:10
	v_pack_b32_f16 v5, v95, v41
	v_pack_b32_f16 v10, v11, v89
	v_add_f16_e32 v6, v9, v7
	v_add_f16_e32 v69, v90, v44
	;; [unrolled: 1-line block ×4, first 2 shown]
	ds_write2_b32 v74, v5, v10 offset0:20 offset1:30
	v_pack_b32_f16 v5, v43, v37
	v_pack_b32_f16 v8, v68, v8
	v_add_f16_e32 v94, v36, v92
	v_sub_f16_e32 v7, v9, v7
	v_sub_f16_e32 v39, v39, v70
	ds_write2_b32 v74, v5, v8 offset0:40 offset1:50
	v_pack_b32_f16 v5, v6, v96
	v_pack_b32_f16 v6, v69, v91
	v_sub_f16_e32 v9, v90, v44
	v_sub_f16_e32 v36, v36, v92
	;; [unrolled: 1-line block ×3, first 2 shown]
	ds_write2_b32 v75, v5, v6 offset1:10
	v_pack_b32_f16 v5, v94, v42
	v_pack_b32_f16 v6, v7, v39
	v_add_u32_e32 v67, 0x780, v48
	v_add_u32_e32 v47, 0xb40, v48
	;; [unrolled: 1-line block ×3, first 2 shown]
	ds_write2_b32 v75, v5, v6 offset0:20 offset1:30
	v_pack_b32_f16 v5, v9, v38
	v_pack_b32_f16 v4, v36, v4
	ds_write2_b32 v75, v5, v4 offset0:40 offset1:50
	s_and_saveexec_b64 s[2:3], vcc
	s_cbranch_execz .LBB0_21
; %bb.20:
	v_mul_f16_sdwa v10, v2, v85 dst_sel:DWORD dst_unused:UNUSED_PAD src0_sel:WORD_1 src1_sel:DWORD
	v_fma_f16 v10, v2, v33, v10
	v_mul_f16_sdwa v33, v2, v33 dst_sel:DWORD dst_unused:UNUSED_PAD src0_sel:WORD_1 src1_sel:DWORD
	v_mul_f16_sdwa v9, v0, v73 dst_sel:DWORD dst_unused:UNUSED_PAD src0_sel:WORD_1 src1_sel:DWORD
	v_fma_f16 v2, v2, v85, -v33
	v_mul_f16_sdwa v33, v66, v35 dst_sel:DWORD dst_unused:UNUSED_PAD src0_sel:WORD_1 src1_sel:DWORD
	v_mul_f16_sdwa v4, v1, v32 dst_sel:DWORD dst_unused:UNUSED_PAD src0_sel:WORD_1 src1_sel:DWORD
	;; [unrolled: 1-line block ×4, first 2 shown]
	v_fma_f16 v9, v0, v31, v9
	v_mul_f16_sdwa v11, v66, v86 dst_sel:DWORD dst_unused:UNUSED_PAD src0_sel:WORD_1 src1_sel:DWORD
	v_fma_f16 v33, v66, v86, -v33
	v_mul_f16_sdwa v31, v0, v31 dst_sel:DWORD dst_unused:UNUSED_PAD src0_sel:WORD_1 src1_sel:DWORD
	v_fma_f16 v4, v1, v87, -v4
	v_fma_f16 v5, v3, v88, -v5
	v_fma_f16 v1, v1, v32, v7
	v_mul_f16_sdwa v7, v3, v88 dst_sel:DWORD dst_unused:UNUSED_PAD src0_sel:WORD_1 src1_sel:DWORD
	v_fma_f16 v11, v66, v35, v11
	v_fma_f16 v0, v0, v73, -v31
	v_add_f16_e32 v31, v33, v2
	v_add_f16_e32 v6, v5, v4
	v_fma_f16 v3, v3, v34, v7
	v_add_f16_e32 v32, v11, v10
	v_fma_f16 v31, v31, -0.5, v0
	v_sub_f16_e32 v36, v10, v11
	v_add_f16_e32 v0, v2, v0
	v_fma_f16 v6, v6, -0.5, v71
	v_sub_f16_e32 v7, v1, v3
	v_fma_f16 v32, v32, -0.5, v9
	v_sub_f16_e32 v34, v2, v33
	v_fma_f16 v37, v36, s4, v31
	v_fma_f16 v31, v36, s5, v31
	v_add_f16_e32 v0, v33, v0
	v_add_f16_e32 v33, v3, v1
	;; [unrolled: 1-line block ×3, first 2 shown]
	v_fma_f16 v8, v7, s4, v6
	v_fma_f16 v35, v34, s5, v32
	;; [unrolled: 1-line block ×4, first 2 shown]
	v_mul_f16_e32 v32, 0.5, v31
	v_add_f16_e32 v36, v4, v71
	v_fma_f16 v33, v33, -0.5, v30
	v_sub_f16_e32 v4, v4, v5
	v_mul_f16_e32 v31, 0xbaee, v31
	v_add_f16_e32 v1, v3, v1
	v_add_f16_e32 v3, v10, v9
	v_mul_f16_e32 v38, -0.5, v37
	v_fma_f16 v32, v7, s5, v32
	v_add_f16_e32 v36, v5, v36
	v_fma_f16 v5, v4, s5, v33
	v_mul_f16_e32 v37, 0xbaee, v37
	v_fma_f16 v4, v4, s4, v33
	v_fma_f16 v7, v7, 0.5, v31
	v_add_f16_e32 v3, v11, v3
	v_fma_f16 v38, v35, s5, v38
	v_sub_f16_e32 v34, v6, v32
	v_sub_f16_e32 v2, v36, v0
	v_fma_f16 v35, v35, -0.5, v37
	v_sub_f16_e32 v31, v4, v7
	v_sub_f16_e32 v9, v1, v3
	v_add_f16_e32 v6, v6, v32
	v_add_f16_e32 v0, v36, v0
	;; [unrolled: 1-line block ×4, first 2 shown]
	v_sub_f16_e32 v39, v8, v38
	v_sub_f16_e32 v37, v5, v35
	v_add_f16_e32 v8, v8, v38
	v_add_f16_e32 v5, v5, v35
	v_add_lshl_u32 v3, v65, v72, 2
	v_pack_b32_f16 v0, v1, v0
	v_pack_b32_f16 v1, v4, v6
	ds_write2_b32 v3, v0, v1 offset1:10
	v_pack_b32_f16 v0, v5, v8
	v_pack_b32_f16 v1, v9, v2
	ds_write2_b32 v3, v0, v1 offset0:20 offset1:30
	v_pack_b32_f16 v0, v31, v34
	v_pack_b32_f16 v1, v37, v39
	ds_write2_b32 v3, v0, v1 offset0:40 offset1:50
.LBB0_21:
	s_or_b64 exec, exec, s[2:3]
	s_waitcnt lgkmcnt(0)
	s_barrier
	ds_read_b32 v32, v64
	ds_read2_b32 v[0:1], v48 offset0:120 offset1:240
	ds_read_b32 v33, v48 offset:7200
	v_add_u32_e32 v37, 0x400, v48
	ds_read2_b32 v[2:3], v37 offset0:104 offset1:224
	v_add_u32_e32 v38, 0x800, v48
	s_waitcnt lgkmcnt(2)
	v_lshrrev_b32_e32 v35, 16, v0
	v_mul_f16_sdwa v85, v12, v35 dst_sel:DWORD dst_unused:UNUSED_PAD src0_sel:WORD_1 src1_sel:DWORD
	v_lshrrev_b32_e32 v36, 16, v1
	v_fma_f16 v85, v12, v0, v85
	v_mul_f16_sdwa v0, v12, v0 dst_sel:DWORD dst_unused:UNUSED_PAD src0_sel:WORD_1 src1_sel:DWORD
	ds_read2_b32 v[4:5], v38 offset0:88 offset1:208
	v_fma_f16 v0, v12, v35, -v0
	v_mul_f16_sdwa v12, v13, v36 dst_sel:DWORD dst_unused:UNUSED_PAD src0_sel:WORD_1 src1_sel:DWORD
	s_waitcnt lgkmcnt(1)
	v_lshrrev_b32_e32 v40, 16, v2
	v_fma_f16 v12, v13, v1, v12
	v_mul_f16_sdwa v1, v13, v1 dst_sel:DWORD dst_unused:UNUSED_PAD src0_sel:WORD_1 src1_sel:DWORD
	v_fma_f16 v1, v13, v36, -v1
	v_mul_f16_sdwa v13, v14, v40 dst_sel:DWORD dst_unused:UNUSED_PAD src0_sel:WORD_1 src1_sel:DWORD
	v_add_u32_e32 v39, 0xc00, v48
	v_lshrrev_b32_e32 v41, 16, v3
	v_fma_f16 v13, v14, v2, v13
	v_mul_f16_sdwa v2, v14, v2 dst_sel:DWORD dst_unused:UNUSED_PAD src0_sel:WORD_1 src1_sel:DWORD
	ds_read2_b32 v[6:7], v39 offset0:72 offset1:192
	v_fma_f16 v2, v14, v40, -v2
	v_mul_f16_sdwa v14, v15, v41 dst_sel:DWORD dst_unused:UNUSED_PAD src0_sel:WORD_1 src1_sel:DWORD
	s_waitcnt lgkmcnt(1)
	v_lshrrev_b32_e32 v42, 16, v4
	v_fma_f16 v14, v15, v3, v14
	v_mul_f16_sdwa v3, v15, v3 dst_sel:DWORD dst_unused:UNUSED_PAD src0_sel:WORD_1 src1_sel:DWORD
	v_fma_f16 v3, v15, v41, -v3
	v_mul_f16_sdwa v15, v16, v42 dst_sel:DWORD dst_unused:UNUSED_PAD src0_sel:WORD_1 src1_sel:DWORD
	v_lshrrev_b32_e32 v43, 16, v5
	v_add_u32_e32 v65, 0x1000, v48
	v_fma_f16 v15, v16, v4, v15
	v_mul_f16_sdwa v4, v16, v4 dst_sel:DWORD dst_unused:UNUSED_PAD src0_sel:WORD_1 src1_sel:DWORD
	ds_read2_b32 v[8:9], v65 offset0:56 offset1:176
	v_fma_f16 v4, v16, v42, -v4
	v_mul_f16_sdwa v16, v17, v43 dst_sel:DWORD dst_unused:UNUSED_PAD src0_sel:WORD_1 src1_sel:DWORD
	s_waitcnt lgkmcnt(1)
	v_lshrrev_b32_e32 v44, 16, v6
	v_fma_f16 v16, v17, v5, v16
	v_mul_f16_sdwa v5, v17, v5 dst_sel:DWORD dst_unused:UNUSED_PAD src0_sel:WORD_1 src1_sel:DWORD
	v_fma_f16 v5, v17, v43, -v5
	v_mul_f16_sdwa v17, v18, v44 dst_sel:DWORD dst_unused:UNUSED_PAD src0_sel:WORD_1 src1_sel:DWORD
	v_lshrrev_b32_e32 v45, 16, v7
	v_add_u32_e32 v66, 0x1400, v48
	v_fma_f16 v17, v18, v6, v17
	v_mul_f16_sdwa v6, v18, v6 dst_sel:DWORD dst_unused:UNUSED_PAD src0_sel:WORD_1 src1_sel:DWORD
	ds_read2_b32 v[10:11], v66 offset0:40 offset1:160
	v_fma_f16 v6, v18, v44, -v6
	v_mul_f16_sdwa v18, v19, v45 dst_sel:DWORD dst_unused:UNUSED_PAD src0_sel:WORD_1 src1_sel:DWORD
	s_waitcnt lgkmcnt(1)
	v_lshrrev_b32_e32 v69, 16, v8
	v_fma_f16 v18, v19, v7, v18
	v_mul_f16_sdwa v7, v19, v7 dst_sel:DWORD dst_unused:UNUSED_PAD src0_sel:WORD_1 src1_sel:DWORD
	v_fma_f16 v7, v19, v45, -v7
	v_mul_f16_sdwa v19, v20, v69 dst_sel:DWORD dst_unused:UNUSED_PAD src0_sel:WORD_1 src1_sel:DWORD
	v_add_u32_e32 v68, 0x1800, v48
	v_lshrrev_b32_e32 v70, 16, v9
	v_fma_f16 v19, v20, v8, v19
	v_mul_f16_sdwa v8, v20, v8 dst_sel:DWORD dst_unused:UNUSED_PAD src0_sel:WORD_1 src1_sel:DWORD
	ds_read2_b32 v[30:31], v68 offset0:24 offset1:144
	v_fma_f16 v8, v20, v69, -v8
	v_mul_f16_sdwa v20, v21, v70 dst_sel:DWORD dst_unused:UNUSED_PAD src0_sel:WORD_1 src1_sel:DWORD
	s_waitcnt lgkmcnt(1)
	v_lshrrev_b32_e32 v71, 16, v10
	v_fma_f16 v20, v21, v9, v20
	v_mul_f16_sdwa v9, v21, v9 dst_sel:DWORD dst_unused:UNUSED_PAD src0_sel:WORD_1 src1_sel:DWORD
	v_fma_f16 v9, v21, v70, -v9
	v_mul_f16_sdwa v21, v22, v71 dst_sel:DWORD dst_unused:UNUSED_PAD src0_sel:WORD_1 src1_sel:DWORD
	v_lshrrev_b32_e32 v72, 16, v11
	v_fma_f16 v21, v22, v10, v21
	v_mul_f16_sdwa v10, v22, v10 dst_sel:DWORD dst_unused:UNUSED_PAD src0_sel:WORD_1 src1_sel:DWORD
	v_fma_f16 v10, v22, v71, -v10
	v_mul_f16_sdwa v22, v23, v72 dst_sel:DWORD dst_unused:UNUSED_PAD src0_sel:WORD_1 src1_sel:DWORD
	s_waitcnt lgkmcnt(0)
	v_lshrrev_b32_e32 v73, 16, v30
	v_fma_f16 v22, v23, v11, v22
	v_mul_f16_sdwa v11, v23, v11 dst_sel:DWORD dst_unused:UNUSED_PAD src0_sel:WORD_1 src1_sel:DWORD
	v_fma_f16 v11, v23, v72, -v11
	v_mul_f16_sdwa v23, v24, v73 dst_sel:DWORD dst_unused:UNUSED_PAD src0_sel:WORD_1 src1_sel:DWORD
	v_lshrrev_b32_e32 v74, 16, v31
	v_fma_f16 v23, v24, v30, v23
	v_mul_f16_sdwa v30, v24, v30 dst_sel:DWORD dst_unused:UNUSED_PAD src0_sel:WORD_1 src1_sel:DWORD
	v_fma_f16 v24, v24, v73, -v30
	v_mul_f16_sdwa v30, v25, v74 dst_sel:DWORD dst_unused:UNUSED_PAD src0_sel:WORD_1 src1_sel:DWORD
	v_lshrrev_b32_e32 v75, 16, v33
	v_fma_f16 v30, v25, v31, v30
	v_mul_f16_sdwa v31, v25, v31 dst_sel:DWORD dst_unused:UNUSED_PAD src0_sel:WORD_1 src1_sel:DWORD
	v_lshrrev_b32_e32 v34, 16, v32
	v_fma_f16 v25, v25, v74, -v31
	v_mul_f16_sdwa v31, v26, v75 dst_sel:DWORD dst_unused:UNUSED_PAD src0_sel:WORD_1 src1_sel:DWORD
	v_fma_f16 v31, v26, v33, v31
	v_mul_f16_sdwa v33, v26, v33 dst_sel:DWORD dst_unused:UNUSED_PAD src0_sel:WORD_1 src1_sel:DWORD
	v_sub_f16_e32 v18, v32, v18
	v_sub_f16_e32 v7, v34, v7
	;; [unrolled: 1-line block ×8, first 2 shown]
	v_fma_f16 v26, v26, v75, -v33
	v_fma_f16 v14, v14, 2.0, -v22
	v_fma_f16 v3, v3, 2.0, -v11
	;; [unrolled: 1-line block ×4, first 2 shown]
	v_add_f16_e32 v11, v18, v11
	v_sub_f16_e32 v22, v7, v22
	v_add_f16_e32 v25, v20, v25
	v_sub_f16_e32 v30, v9, v30
	v_fma_f16 v32, v32, 2.0, -v18
	v_fma_f16 v33, v34, 2.0, -v7
	;; [unrolled: 1-line block ×4, first 2 shown]
	v_sub_f16_e32 v19, v85, v19
	v_sub_f16_e32 v8, v0, v8
	;; [unrolled: 1-line block ×8, first 2 shown]
	v_fma_f16 v18, v18, 2.0, -v11
	v_fma_f16 v7, v7, 2.0, -v22
	;; [unrolled: 1-line block ×4, first 2 shown]
	s_mov_b32 s2, 0xb9a8
	v_fma_f16 v15, v15, 2.0, -v23
	v_fma_f16 v4, v4, 2.0, -v24
	;; [unrolled: 1-line block ×4, first 2 shown]
	v_add_f16_e32 v24, v19, v24
	v_sub_f16_e32 v23, v8, v23
	v_add_f16_e32 v26, v21, v26
	v_sub_f16_e32 v31, v10, v31
	v_fma_f16 v35, v20, s2, v18
	v_fma_f16 v36, v9, s2, v7
	s_movk_i32 s3, 0x39a8
	v_fma_f16 v34, v85, 2.0, -v19
	v_fma_f16 v0, v0, 2.0, -v8
	;; [unrolled: 1-line block ×8, first 2 shown]
	v_fma_f16 v9, v9, s3, v35
	v_fma_f16 v20, v20, s2, v36
	;; [unrolled: 1-line block ×8, first 2 shown]
	v_sub_f16_e32 v14, v32, v14
	v_sub_f16_e32 v3, v33, v3
	;; [unrolled: 1-line block ×8, first 2 shown]
	v_fma_f16 v10, v10, s3, v35
	v_fma_f16 v21, v21, s2, v36
	v_fma_f16 v12, v12, 2.0, -v16
	v_fma_f16 v1, v1, 2.0, -v5
	;; [unrolled: 1-line block ×6, first 2 shown]
	v_add_f16_e32 v5, v14, v5
	v_sub_f16_e32 v16, v3, v16
	v_fma_f16 v19, v19, 2.0, -v10
	v_fma_f16 v8, v8, 2.0, -v21
	v_add_f16_e32 v6, v15, v6
	v_sub_f16_e32 v17, v4, v17
	v_fma_f16 v35, v26, s3, v24
	v_fma_f16 v36, v31, s3, v23
	s_mov_b32 s4, 0xbb64
	v_fma_f16 v32, v32, 2.0, -v14
	v_fma_f16 v33, v33, 2.0, -v3
	;; [unrolled: 1-line block ×8, first 2 shown]
	v_fma_f16 v31, v31, s3, v35
	v_fma_f16 v26, v26, s2, v36
	;; [unrolled: 1-line block ×4, first 2 shown]
	s_movk_i32 s5, 0x361f
	s_mov_b32 s12, 0xb61f
	v_sub_f16_e32 v12, v32, v12
	v_sub_f16_e32 v1, v33, v1
	v_fma_f16 v11, v11, 2.0, -v30
	v_fma_f16 v22, v22, 2.0, -v25
	v_sub_f16_e32 v13, v34, v13
	v_sub_f16_e32 v2, v0, v2
	v_fma_f16 v24, v24, 2.0, -v31
	v_fma_f16 v23, v23, 2.0, -v26
	v_fma_f16 v8, v8, s5, v35
	v_fma_f16 v19, v19, s12, v36
	;; [unrolled: 1-line block ×4, first 2 shown]
	v_fma_f16 v32, v32, 2.0, -v12
	v_fma_f16 v33, v33, 2.0, -v1
	;; [unrolled: 1-line block ×4, first 2 shown]
	v_fma_f16 v4, v4, s3, v35
	v_fma_f16 v15, v15, s2, v36
	;; [unrolled: 1-line block ×4, first 2 shown]
	s_movk_i32 s13, 0x3b64
	v_sub_f16_e32 v34, v32, v34
	v_sub_f16_e32 v0, v33, v0
	v_fma_f16 v23, v23, s13, v35
	v_fma_f16 v24, v24, s4, v36
	v_fma_f16 v35, v10, s5, v9
	v_fma_f16 v36, v21, s5, v20
	v_fma_f16 v32, v32, 2.0, -v34
	v_fma_f16 v33, v33, 2.0, -v0
	;; [unrolled: 1-line block ×4, first 2 shown]
	v_fma_f16 v21, v21, s13, v35
	v_fma_f16 v10, v10, s4, v36
	;; [unrolled: 1-line block ×4, first 2 shown]
	v_fma_f16 v14, v14, 2.0, -v4
	v_fma_f16 v3, v3, 2.0, -v15
	;; [unrolled: 1-line block ×4, first 2 shown]
	v_add_f16_e32 v2, v12, v2
	v_sub_f16_e32 v13, v1, v13
	v_fma_f16 v17, v17, s3, v35
	v_fma_f16 v6, v6, s2, v36
	;; [unrolled: 1-line block ×4, first 2 shown]
	v_pack_b32_f16 v32, v32, v33
	v_pack_b32_f16 v7, v18, v7
	v_fma_f16 v12, v12, 2.0, -v2
	v_fma_f16 v1, v1, 2.0, -v13
	;; [unrolled: 1-line block ×4, first 2 shown]
	v_fma_f16 v26, v26, s5, v35
	v_fma_f16 v31, v31, s12, v36
	s_barrier
	ds_write2_b32 v76, v32, v7 offset1:60
	v_pack_b32_f16 v3, v14, v3
	v_pack_b32_f16 v7, v11, v22
	v_fma_f16 v5, v5, 2.0, -v17
	v_fma_f16 v16, v16, 2.0, -v6
	;; [unrolled: 1-line block ×4, first 2 shown]
	ds_write2_b32 v76, v3, v7 offset0:120 offset1:180
	v_pack_b32_f16 v1, v12, v1
	v_pack_b32_f16 v3, v9, v20
	v_add_u32_e32 v7, 0x200, v76
	ds_write2_b32 v7, v1, v3 offset0:112 offset1:172
	v_pack_b32_f16 v1, v5, v16
	v_pack_b32_f16 v3, v30, v25
	v_add_u32_e32 v5, 0x400, v76
	;; [unrolled: 4-line block ×6, first 2 shown]
	ds_write2_b32 v2, v0, v1 offset0:72 offset1:132
	s_waitcnt lgkmcnt(0)
	s_barrier
	ds_read_b32 v14, v64
	ds_read2_b32 v[0:1], v39 offset0:72 offset1:192
	ds_read2_b32 v[2:3], v48 offset0:120 offset1:240
	;; [unrolled: 1-line block ×3, first 2 shown]
	ds_read_b32 v15, v48 offset:7200
	ds_read2_b32 v[8:9], v66 offset0:40 offset1:160
	s_waitcnt lgkmcnt(4)
	v_lshrrev_b32_e32 v17, 16, v1
	v_mul_f16_sdwa v35, v77, v17 dst_sel:DWORD dst_unused:UNUSED_PAD src0_sel:WORD_1 src1_sel:DWORD
	s_waitcnt lgkmcnt(2)
	v_lshrrev_b32_e32 v19, 16, v4
	v_fma_f16 v35, v77, v1, v35
	v_mul_f16_sdwa v1, v77, v1 dst_sel:DWORD dst_unused:UNUSED_PAD src0_sel:WORD_1 src1_sel:DWORD
	v_fma_f16 v1, v77, v17, -v1
	v_mul_f16_sdwa v17, v78, v19 dst_sel:DWORD dst_unused:UNUSED_PAD src0_sel:WORD_1 src1_sel:DWORD
	v_lshrrev_b32_e32 v21, 16, v5
	v_fma_f16 v17, v78, v4, v17
	v_mul_f16_sdwa v4, v78, v4 dst_sel:DWORD dst_unused:UNUSED_PAD src0_sel:WORD_1 src1_sel:DWORD
	ds_read2_b32 v[6:7], v37 offset0:104 offset1:224
	ds_read2_b32 v[10:11], v38 offset0:88 offset1:208
	;; [unrolled: 1-line block ×3, first 2 shown]
	v_fma_f16 v4, v78, v19, -v4
	v_mul_f16_sdwa v19, v79, v21 dst_sel:DWORD dst_unused:UNUSED_PAD src0_sel:WORD_1 src1_sel:DWORD
	s_waitcnt lgkmcnt(3)
	v_lshrrev_b32_e32 v23, 16, v8
	v_fma_f16 v19, v79, v5, v19
	v_mul_f16_sdwa v5, v79, v5 dst_sel:DWORD dst_unused:UNUSED_PAD src0_sel:WORD_1 src1_sel:DWORD
	v_fma_f16 v5, v79, v21, -v5
	v_mul_f16_sdwa v21, v80, v23 dst_sel:DWORD dst_unused:UNUSED_PAD src0_sel:WORD_1 src1_sel:DWORD
	v_lshrrev_b32_e32 v25, 16, v9
	v_fma_f16 v21, v80, v8, v21
	v_mul_f16_sdwa v8, v80, v8 dst_sel:DWORD dst_unused:UNUSED_PAD src0_sel:WORD_1 src1_sel:DWORD
	v_fma_f16 v8, v80, v23, -v8
	v_mul_f16_sdwa v23, v81, v25 dst_sel:DWORD dst_unused:UNUSED_PAD src0_sel:WORD_1 src1_sel:DWORD
	s_waitcnt lgkmcnt(0)
	v_lshrrev_b32_e32 v30, 16, v12
	v_fma_f16 v23, v81, v9, v23
	v_mul_f16_sdwa v9, v81, v9 dst_sel:DWORD dst_unused:UNUSED_PAD src0_sel:WORD_1 src1_sel:DWORD
	v_fma_f16 v9, v81, v25, -v9
	v_mul_f16_sdwa v25, v82, v30 dst_sel:DWORD dst_unused:UNUSED_PAD src0_sel:WORD_1 src1_sel:DWORD
	v_lshrrev_b32_e32 v32, 16, v13
	v_fma_f16 v25, v82, v12, v25
	v_mul_f16_sdwa v12, v82, v12 dst_sel:DWORD dst_unused:UNUSED_PAD src0_sel:WORD_1 src1_sel:DWORD
	v_fma_f16 v12, v82, v30, -v12
	v_mul_f16_sdwa v30, v83, v32 dst_sel:DWORD dst_unused:UNUSED_PAD src0_sel:WORD_1 src1_sel:DWORD
	v_lshrrev_b32_e32 v34, 16, v15
	v_fma_f16 v30, v83, v13, v30
	v_mul_f16_sdwa v13, v83, v13 dst_sel:DWORD dst_unused:UNUSED_PAD src0_sel:WORD_1 src1_sel:DWORD
	v_fma_f16 v13, v83, v32, -v13
	v_mul_f16_sdwa v32, v84, v34 dst_sel:DWORD dst_unused:UNUSED_PAD src0_sel:WORD_1 src1_sel:DWORD
	v_lshrrev_b32_e32 v16, 16, v14
	v_lshrrev_b32_e32 v18, 16, v2
	;; [unrolled: 1-line block ×3, first 2 shown]
	v_fma_f16 v32, v84, v15, v32
	v_mul_f16_sdwa v15, v84, v15 dst_sel:DWORD dst_unused:UNUSED_PAD src0_sel:WORD_1 src1_sel:DWORD
	v_fma_f16 v15, v84, v34, -v15
	v_sub_f16_e32 v34, v14, v35
	v_sub_f16_e32 v1, v16, v1
	;; [unrolled: 1-line block ×6, first 2 shown]
	v_lshrrev_b32_e32 v22, 16, v6
	v_lshrrev_b32_e32 v24, 16, v7
	v_fma_f16 v14, v14, 2.0, -v34
	v_fma_f16 v16, v16, 2.0, -v1
	;; [unrolled: 1-line block ×6, first 2 shown]
	v_sub_f16_e32 v21, v6, v21
	v_sub_f16_e32 v8, v22, v8
	;; [unrolled: 1-line block ×4, first 2 shown]
	v_pack_b32_f16 v14, v14, v16
	v_pack_b32_f16 v2, v2, v18
	;; [unrolled: 1-line block ×3, first 2 shown]
	v_lshrrev_b32_e32 v26, 16, v10
	v_lshrrev_b32_e32 v31, 16, v11
	;; [unrolled: 1-line block ×3, first 2 shown]
	v_fma_f16 v6, v6, 2.0, -v21
	v_fma_f16 v22, v22, 2.0, -v8
	;; [unrolled: 1-line block ×4, first 2 shown]
	ds_write_b32 v64, v14
	v_pack_b32_f16 v4, v17, v4
	ds_write2_b32 v48, v2, v3 offset0:120 offset1:240
	v_pack_b32_f16 v2, v19, v5
	v_sub_f16_e32 v25, v10, v25
	v_sub_f16_e32 v12, v26, v12
	;; [unrolled: 1-line block ×6, first 2 shown]
	ds_write2_b32 v65, v4, v2 offset0:56 offset1:176
	v_pack_b32_f16 v2, v6, v22
	v_pack_b32_f16 v4, v7, v24
	v_fma_f16 v10, v10, 2.0, -v25
	v_fma_f16 v26, v26, 2.0, -v12
	;; [unrolled: 1-line block ×6, first 2 shown]
	v_pack_b32_f16 v3, v21, v8
	ds_write2_b32 v37, v2, v4 offset0:104 offset1:224
	v_pack_b32_f16 v2, v23, v9
	v_pack_b32_f16 v4, v25, v12
	v_add_u32_e32 v5, 0x1480, v48
	v_pack_b32_f16 v1, v34, v1
	ds_write_b32 v67, v2 offset:3840
	v_pack_b32_f16 v2, v10, v26
	ds_write2_b32 v5, v3, v4 offset0:8 offset1:248
	v_pack_b32_f16 v3, v11, v31
	v_pack_b32_f16 v0, v0, v33
	ds_write2_b32 v38, v2, v3 offset0:88 offset1:208
	v_pack_b32_f16 v2, v30, v13
	ds_write2_b32 v39, v0, v1 offset0:72 offset1:192
	v_pack_b32_f16 v0, v32, v15
	ds_write_b32 v47, v2 offset:3840
	ds_write_b32 v46, v0 offset:3840
	s_waitcnt lgkmcnt(0)
	s_barrier
	ds_read_b32 v0, v64
	ds_read_b32 v1, v48 offset:6912
	s_mov_b32 s12, 0x11111111
	s_mov_b32 s13, 0x3f411111
	v_mad_u64_u32 v[3:4], s[2:3], s10, v29, 0
	s_waitcnt lgkmcnt(1)
	v_lshrrev_b32_e32 v9, 16, v0
	v_mul_f16_sdwa v2, v63, v9 dst_sel:DWORD dst_unused:UNUSED_PAD src0_sel:WORD_1 src1_sel:DWORD
	v_fma_f16 v2, v63, v0, v2
	v_cvt_f32_f16_e32 v2, v2
	s_movk_i32 s15, 0x1ff
	s_movk_i32 s14, 0xffe
	v_mul_f16_sdwa v0, v63, v0 dst_sel:DWORD dst_unused:UNUSED_PAD src0_sel:WORD_1 src1_sel:DWORD
	v_cvt_f64_f32_e32 v[5:6], v2
	v_mov_b32_e32 v2, v4
	v_mad_u64_u32 v[7:8], s[2:3], s11, v29, v[2:3]
	v_mul_f64 v[5:6], v[5:6], s[12:13]
	v_fma_f16 v0, v63, v9, -v0
	v_mov_b32_e32 v4, v7
	v_cvt_f32_f16_e32 v0, v0
	s_movk_i32 s10, 0x40f
	s_mov_b32 s11, 0x8000
	v_lshlrev_b64 v[3:4], 2, v[3:4]
	s_mul_hi_u32 s4, s8, 0x600
	v_and_or_b32 v2, v6, s15, v5
	v_cmp_ne_u32_e32 vcc, 0, v2
	v_cndmask_b32_e64 v2, 0, 1, vcc
	v_lshrrev_b32_e32 v5, 8, v6
	v_bfe_u32 v7, v6, 20, 11
	v_and_or_b32 v5, v5, s14, v2
	v_sub_u32_e32 v8, 0x3f1, v7
	v_or_b32_e32 v2, 0x1000, v5
	v_med3_i32 v8, v8, 0, 13
	v_lshrrev_b32_e32 v10, v8, v2
	v_lshlrev_b32_e32 v8, v8, v10
	v_cmp_ne_u32_e32 vcc, v8, v2
	v_cndmask_b32_e64 v2, 0, 1, vcc
	v_or_b32_e32 v2, v10, v2
	v_add_u32_e32 v10, 0xfffffc10, v7
	v_lshl_or_b32 v7, v10, 12, v5
	v_cmp_gt_i32_e32 vcc, 1, v10
	v_cndmask_b32_e32 v2, v7, v2, vcc
	v_and_b32_e32 v7, 7, v2
	v_cmp_lt_i32_e32 vcc, 5, v7
	v_cmp_eq_u32_e64 s[2:3], 3, v7
	v_cvt_f64_f32_e32 v[7:8], v0
	v_lshrrev_b32_e32 v2, 2, v2
	s_or_b64 vcc, s[2:3], vcc
	v_addc_co_u32_e32 v9, vcc, 0, v2, vcc
	v_mul_f64 v[7:8], v[7:8], s[12:13]
	v_mov_b32_e32 v2, 0x7c00
	v_cmp_gt_i32_e32 vcc, 31, v10
	v_cndmask_b32_e32 v0, v2, v9, vcc
	v_cmp_ne_u32_e32 vcc, 0, v5
	v_cndmask_b32_e64 v5, 0, 1, vcc
	v_lshl_or_b32 v5, v5, 9, v2
	v_cmp_eq_u32_e32 vcc, s10, v10
	v_cndmask_b32_e32 v0, v0, v5, vcc
	v_lshrrev_b32_e32 v5, 16, v6
	v_and_or_b32 v11, v5, s11, v0
	v_and_or_b32 v0, v8, s15, v7
	v_cmp_ne_u32_e32 vcc, 0, v0
	v_cndmask_b32_e64 v0, 0, 1, vcc
	v_lshrrev_b32_e32 v5, 8, v8
	v_bfe_u32 v6, v8, 20, 11
	v_and_or_b32 v0, v5, s14, v0
	v_sub_u32_e32 v7, 0x3f1, v6
	v_or_b32_e32 v5, 0x1000, v0
	v_med3_i32 v7, v7, 0, 13
	v_lshrrev_b32_e32 v9, v7, v5
	v_lshlrev_b32_e32 v7, v7, v9
	v_cmp_ne_u32_e32 vcc, v7, v5
	v_cndmask_b32_e64 v5, 0, 1, vcc
	v_add_u32_e32 v7, 0xfffffc10, v6
	v_or_b32_e32 v5, v9, v5
	v_lshl_or_b32 v6, v7, 12, v0
	v_cmp_gt_i32_e32 vcc, 1, v7
	v_cndmask_b32_e32 v5, v6, v5, vcc
	v_and_b32_e32 v6, 7, v5
	v_cmp_lt_i32_e32 vcc, 5, v6
	v_cmp_eq_u32_e64 s[2:3], 3, v6
	v_lshrrev_b32_e32 v5, 2, v5
	s_or_b64 vcc, s[2:3], vcc
	v_addc_co_u32_e32 v5, vcc, 0, v5, vcc
	v_cmp_gt_i32_e32 vcc, 31, v7
	v_cndmask_b32_e32 v9, v2, v5, vcc
	v_cmp_ne_u32_e32 vcc, 0, v0
	v_cndmask_b32_e64 v0, 0, 1, vcc
	v_lshl_or_b32 v0, v0, 9, v2
	v_cmp_eq_u32_e32 vcc, s10, v7
	v_cndmask_b32_e32 v12, v9, v0, vcc
	ds_read2st64_b32 v[9:10], v48 offset0:3 offset1:6
	v_mad_u64_u32 v[5:6], s[2:3], s8, v60, 0
	v_lshrrev_b32_e32 v8, 16, v8
	v_and_or_b32 v12, v8, s11, v12
	v_mov_b32_e32 v0, v6
	s_waitcnt lgkmcnt(0)
	v_lshrrev_b32_e32 v13, 16, v9
	v_mad_u64_u32 v[6:7], s[2:3], s9, v60, v[0:1]
	v_mul_f16_sdwa v0, v62, v13 dst_sel:DWORD dst_unused:UNUSED_PAD src0_sel:WORD_1 src1_sel:DWORD
	v_fma_f16 v0, v62, v9, v0
	v_cvt_f32_f16_e32 v0, v0
	v_and_b32_e32 v11, 0xffff, v11
	v_lshl_or_b32 v11, v12, 16, v11
	v_mov_b32_e32 v12, s7
	v_cvt_f64_f32_e32 v[7:8], v0
	v_add_co_u32_e32 v0, vcc, s6, v3
	v_addc_co_u32_e32 v3, vcc, v12, v4, vcc
	v_mul_f64 v[7:8], v[7:8], s[12:13]
	v_lshlrev_b64 v[4:5], 2, v[5:6]
	v_mul_f16_sdwa v9, v62, v9 dst_sel:DWORD dst_unused:UNUSED_PAD src0_sel:WORD_1 src1_sel:DWORD
	v_add_co_u32_e32 v4, vcc, v0, v4
	v_addc_co_u32_e32 v5, vcc, v3, v5, vcc
	global_store_dword v[4:5], v11, off
	v_and_or_b32 v6, v8, s15, v7
	v_cmp_ne_u32_e32 vcc, 0, v6
	v_cndmask_b32_e64 v6, 0, 1, vcc
	v_lshrrev_b32_e32 v7, 8, v8
	v_and_or_b32 v11, v7, s14, v6
	v_bfe_u32 v7, v8, 20, 11
	v_sub_u32_e32 v12, 0x3f1, v7
	v_or_b32_e32 v6, 0x1000, v11
	v_med3_i32 v12, v12, 0, 13
	v_lshrrev_b32_e32 v14, v12, v6
	v_lshlrev_b32_e32 v12, v12, v14
	v_cmp_ne_u32_e32 vcc, v12, v6
	v_fma_f16 v9, v62, v13, -v9
	v_cndmask_b32_e64 v6, 0, 1, vcc
	v_add_u32_e32 v12, 0xfffffc10, v7
	v_cvt_f32_f16_e32 v9, v9
	v_or_b32_e32 v6, v14, v6
	v_lshl_or_b32 v7, v12, 12, v11
	v_cmp_gt_i32_e32 vcc, 1, v12
	v_cndmask_b32_e32 v6, v7, v6, vcc
	v_and_b32_e32 v7, 7, v6
	v_cmp_lt_i32_e32 vcc, 5, v7
	v_cmp_eq_u32_e64 s[2:3], 3, v7
	v_lshrrev_b32_e32 v13, 2, v6
	v_cvt_f64_f32_e32 v[6:7], v9
	s_or_b64 vcc, s[2:3], vcc
	v_addc_co_u32_e32 v9, vcc, 0, v13, vcc
	v_mul_f64 v[6:7], v[6:7], s[12:13]
	v_cmp_gt_i32_e32 vcc, 31, v12
	v_cndmask_b32_e32 v9, v2, v9, vcc
	v_cmp_ne_u32_e32 vcc, 0, v11
	v_cndmask_b32_e64 v11, 0, 1, vcc
	v_lshl_or_b32 v11, v11, 9, v2
	v_cmp_eq_u32_e32 vcc, s10, v12
	v_cndmask_b32_e32 v9, v9, v11, vcc
	v_and_or_b32 v6, v7, s15, v6
	v_lshrrev_b32_e32 v8, 16, v8
	v_cmp_ne_u32_e32 vcc, 0, v6
	v_and_or_b32 v8, v8, s11, v9
	v_cndmask_b32_e64 v6, 0, 1, vcc
	v_lshrrev_b32_e32 v9, 8, v7
	v_bfe_u32 v11, v7, 20, 11
	v_and_or_b32 v6, v9, s14, v6
	v_sub_u32_e32 v12, 0x3f1, v11
	v_or_b32_e32 v9, 0x1000, v6
	v_med3_i32 v12, v12, 0, 13
	v_lshrrev_b32_e32 v13, v12, v9
	v_lshlrev_b32_e32 v12, v12, v13
	v_cmp_ne_u32_e32 vcc, v12, v9
	v_cndmask_b32_e64 v9, 0, 1, vcc
	v_add_u32_e32 v11, 0xfffffc10, v11
	v_or_b32_e32 v9, v13, v9
	v_lshl_or_b32 v12, v11, 12, v6
	v_cmp_gt_i32_e32 vcc, 1, v11
	v_cndmask_b32_e32 v9, v12, v9, vcc
	v_and_b32_e32 v12, 7, v9
	v_cmp_lt_i32_e32 vcc, 5, v12
	v_cmp_eq_u32_e64 s[2:3], 3, v12
	v_lshrrev_b32_e32 v9, 2, v9
	s_or_b64 vcc, s[2:3], vcc
	v_addc_co_u32_e32 v9, vcc, 0, v9, vcc
	v_cmp_gt_i32_e32 vcc, 31, v11
	v_cndmask_b32_e32 v9, v2, v9, vcc
	v_cmp_ne_u32_e32 vcc, 0, v6
	v_cndmask_b32_e64 v6, 0, 1, vcc
	v_lshl_or_b32 v6, v6, 9, v2
	v_cmp_eq_u32_e32 vcc, s10, v11
	v_cndmask_b32_e32 v6, v9, v6, vcc
	v_lshrrev_b32_e32 v7, 16, v7
	v_lshrrev_b32_e32 v11, 16, v10
	v_and_or_b32 v9, v7, s11, v6
	v_mul_f16_sdwa v6, v61, v11 dst_sel:DWORD dst_unused:UNUSED_PAD src0_sel:WORD_1 src1_sel:DWORD
	v_fma_f16 v6, v61, v10, v6
	v_cvt_f32_f16_e32 v6, v6
	s_mul_i32 s2, s9, 0xc0
	s_mul_hi_u32 s3, s8, 0xc0
	s_add_i32 s3, s3, s2
	v_cvt_f64_f32_e32 v[6:7], v6
	s_mul_i32 s2, s8, 0xc0
	v_and_b32_e32 v8, 0xffff, v8
	s_lshl_b64 s[6:7], s[2:3], 2
	v_mul_f64 v[6:7], v[6:7], s[12:13]
	v_lshl_or_b32 v8, v9, 16, v8
	v_mov_b32_e32 v9, s7
	v_add_co_u32_e32 v4, vcc, s6, v4
	v_addc_co_u32_e32 v5, vcc, v5, v9, vcc
	global_store_dword v[4:5], v8, off
	v_and_or_b32 v6, v7, s15, v6
	v_cmp_ne_u32_e32 vcc, 0, v6
	v_cndmask_b32_e64 v6, 0, 1, vcc
	v_lshrrev_b32_e32 v8, 8, v7
	v_bfe_u32 v9, v7, 20, 11
	v_and_or_b32 v6, v8, s14, v6
	v_sub_u32_e32 v12, 0x3f1, v9
	v_or_b32_e32 v8, 0x1000, v6
	v_med3_i32 v12, v12, 0, 13
	v_lshrrev_b32_e32 v13, v12, v8
	v_lshlrev_b32_e32 v12, v12, v13
	v_mul_f16_sdwa v10, v61, v10 dst_sel:DWORD dst_unused:UNUSED_PAD src0_sel:WORD_1 src1_sel:DWORD
	v_cmp_ne_u32_e32 vcc, v12, v8
	v_fma_f16 v10, v61, v11, -v10
	v_cndmask_b32_e64 v8, 0, 1, vcc
	v_add_u32_e32 v12, 0xfffffc10, v9
	v_cvt_f32_f16_e32 v10, v10
	v_or_b32_e32 v8, v13, v8
	v_lshl_or_b32 v9, v12, 12, v6
	v_cmp_gt_i32_e32 vcc, 1, v12
	v_cndmask_b32_e32 v8, v9, v8, vcc
	v_and_b32_e32 v9, 7, v8
	v_cmp_lt_i32_e32 vcc, 5, v9
	v_cmp_eq_u32_e64 s[2:3], 3, v9
	v_lshrrev_b32_e32 v11, 2, v8
	v_cvt_f64_f32_e32 v[8:9], v10
	s_or_b64 vcc, s[2:3], vcc
	v_addc_co_u32_e32 v10, vcc, 0, v11, vcc
	v_mul_f64 v[8:9], v[8:9], s[12:13]
	v_cmp_gt_i32_e32 vcc, 31, v12
	v_cndmask_b32_e32 v10, v2, v10, vcc
	v_cmp_ne_u32_e32 vcc, 0, v6
	v_cndmask_b32_e64 v6, 0, 1, vcc
	v_lshl_or_b32 v6, v6, 9, v2
	v_cmp_eq_u32_e32 vcc, s10, v12
	v_cndmask_b32_e32 v6, v10, v6, vcc
	v_lshrrev_b32_e32 v7, 16, v7
	v_and_or_b32 v12, v7, s11, v6
	v_and_or_b32 v6, v9, s15, v8
	v_cmp_ne_u32_e32 vcc, 0, v6
	v_cndmask_b32_e64 v6, 0, 1, vcc
	v_lshrrev_b32_e32 v7, 8, v9
	v_bfe_u32 v8, v9, 20, 11
	v_and_or_b32 v6, v7, s14, v6
	v_sub_u32_e32 v10, 0x3f1, v8
	v_or_b32_e32 v7, 0x1000, v6
	v_med3_i32 v10, v10, 0, 13
	v_lshrrev_b32_e32 v11, v10, v7
	v_lshlrev_b32_e32 v10, v10, v11
	v_cmp_ne_u32_e32 vcc, v10, v7
	v_cndmask_b32_e64 v7, 0, 1, vcc
	v_add_u32_e32 v8, 0xfffffc10, v8
	v_or_b32_e32 v7, v11, v7
	v_lshl_or_b32 v10, v8, 12, v6
	v_cmp_gt_i32_e32 vcc, 1, v8
	v_cndmask_b32_e32 v7, v10, v7, vcc
	v_and_b32_e32 v10, 7, v7
	v_cmp_lt_i32_e32 vcc, 5, v10
	v_cmp_eq_u32_e64 s[2:3], 3, v10
	v_lshrrev_b32_e32 v7, 2, v7
	s_or_b64 vcc, s[2:3], vcc
	v_addc_co_u32_e32 v7, vcc, 0, v7, vcc
	ds_read2st64_b32 v[10:11], v48 offset0:9 offset1:12
	v_cmp_gt_i32_e32 vcc, 31, v8
	v_cndmask_b32_e32 v13, v2, v7, vcc
	v_cmp_ne_u32_e32 vcc, 0, v6
	v_cndmask_b32_e64 v14, 0, 1, vcc
	v_lshl_or_b32 v14, v14, 9, v2
	v_cmp_eq_u32_e32 vcc, s10, v8
	v_cndmask_b32_e32 v13, v13, v14, vcc
	s_waitcnt lgkmcnt(0)
	v_lshrrev_b32_e32 v14, 16, v10
	v_mul_f16_sdwa v8, v59, v14 dst_sel:DWORD dst_unused:UNUSED_PAD src0_sel:WORD_1 src1_sel:DWORD
	v_mad_u64_u32 v[6:7], s[2:3], s8, v58, 0
	v_fma_f16 v8, v59, v10, v8
	v_cvt_f32_f16_e32 v15, v8
	v_mad_u64_u32 v[7:8], s[2:3], s9, v58, v[7:8]
	v_lshrrev_b32_e32 v16, 16, v9
	v_cvt_f64_f32_e32 v[8:9], v15
	v_lshlrev_b64 v[6:7], 2, v[6:7]
	v_and_or_b32 v13, v16, s11, v13
	v_and_b32_e32 v12, 0xffff, v12
	v_mul_f64 v[8:9], v[8:9], s[12:13]
	v_add_co_u32_e32 v6, vcc, v0, v6
	v_lshl_or_b32 v12, v13, 16, v12
	v_addc_co_u32_e32 v7, vcc, v3, v7, vcc
	global_store_dword v[6:7], v12, off
	v_mul_f16_sdwa v10, v59, v10 dst_sel:DWORD dst_unused:UNUSED_PAD src0_sel:WORD_1 src1_sel:DWORD
	v_and_or_b32 v6, v9, s15, v8
	v_cmp_ne_u32_e32 vcc, 0, v6
	v_cndmask_b32_e64 v6, 0, 1, vcc
	v_lshrrev_b32_e32 v7, 8, v9
	v_and_or_b32 v8, v7, s14, v6
	v_bfe_u32 v7, v9, 20, 11
	v_sub_u32_e32 v12, 0x3f1, v7
	v_or_b32_e32 v6, 0x1000, v8
	v_med3_i32 v12, v12, 0, 13
	v_lshrrev_b32_e32 v13, v12, v6
	v_lshlrev_b32_e32 v12, v12, v13
	v_cmp_ne_u32_e32 vcc, v12, v6
	v_fma_f16 v10, v59, v14, -v10
	v_cndmask_b32_e64 v6, 0, 1, vcc
	v_add_u32_e32 v12, 0xfffffc10, v7
	v_cvt_f32_f16_e32 v10, v10
	v_or_b32_e32 v6, v13, v6
	v_lshl_or_b32 v7, v12, 12, v8
	v_cmp_gt_i32_e32 vcc, 1, v12
	v_cndmask_b32_e32 v6, v7, v6, vcc
	v_and_b32_e32 v7, 7, v6
	v_cmp_lt_i32_e32 vcc, 5, v7
	v_cmp_eq_u32_e64 s[2:3], 3, v7
	v_lshrrev_b32_e32 v13, 2, v6
	v_cvt_f64_f32_e32 v[6:7], v10
	s_or_b64 vcc, s[2:3], vcc
	v_addc_co_u32_e32 v10, vcc, 0, v13, vcc
	v_mul_f64 v[6:7], v[6:7], s[12:13]
	v_cmp_gt_i32_e32 vcc, 31, v12
	v_cndmask_b32_e32 v10, v2, v10, vcc
	v_cmp_ne_u32_e32 vcc, 0, v8
	v_cndmask_b32_e64 v8, 0, 1, vcc
	v_lshl_or_b32 v8, v8, 9, v2
	v_cmp_eq_u32_e32 vcc, s10, v12
	v_cndmask_b32_e32 v8, v10, v8, vcc
	v_and_or_b32 v6, v7, s15, v6
	v_lshrrev_b32_e32 v9, 16, v9
	v_cmp_ne_u32_e32 vcc, 0, v6
	v_and_or_b32 v8, v9, s11, v8
	v_cndmask_b32_e64 v6, 0, 1, vcc
	v_lshrrev_b32_e32 v9, 8, v7
	v_bfe_u32 v10, v7, 20, 11
	v_and_or_b32 v6, v9, s14, v6
	v_sub_u32_e32 v12, 0x3f1, v10
	v_or_b32_e32 v9, 0x1000, v6
	v_med3_i32 v12, v12, 0, 13
	v_lshrrev_b32_e32 v13, v12, v9
	v_lshlrev_b32_e32 v12, v12, v13
	v_cmp_ne_u32_e32 vcc, v12, v9
	v_cndmask_b32_e64 v9, 0, 1, vcc
	v_add_u32_e32 v10, 0xfffffc10, v10
	v_or_b32_e32 v9, v13, v9
	v_lshl_or_b32 v12, v10, 12, v6
	v_cmp_gt_i32_e32 vcc, 1, v10
	v_cndmask_b32_e32 v9, v12, v9, vcc
	v_and_b32_e32 v12, 7, v9
	v_cmp_lt_i32_e32 vcc, 5, v12
	v_cmp_eq_u32_e64 s[2:3], 3, v12
	v_lshrrev_b32_e32 v9, 2, v9
	s_or_b64 vcc, s[2:3], vcc
	v_addc_co_u32_e32 v9, vcc, 0, v9, vcc
	v_cmp_gt_i32_e32 vcc, 31, v10
	v_cndmask_b32_e32 v9, v2, v9, vcc
	v_cmp_ne_u32_e32 vcc, 0, v6
	v_cndmask_b32_e64 v6, 0, 1, vcc
	v_lshl_or_b32 v6, v6, 9, v2
	v_cmp_eq_u32_e32 vcc, s10, v10
	v_cndmask_b32_e32 v6, v9, v6, vcc
	v_lshrrev_b32_e32 v9, 16, v11
	v_mul_f16_sdwa v10, v57, v9 dst_sel:DWORD dst_unused:UNUSED_PAD src0_sel:WORD_1 src1_sel:DWORD
	v_fma_f16 v10, v57, v11, v10
	v_cvt_f32_f16_e32 v10, v10
	v_lshrrev_b32_e32 v7, 16, v7
	v_and_or_b32 v6, v7, s11, v6
	v_and_b32_e32 v7, 0xffff, v8
	v_lshl_or_b32 v8, v6, 16, v7
	v_cvt_f64_f32_e32 v[6:7], v10
	s_mul_i32 s2, s9, 0x600
	s_add_i32 s4, s4, s2
	s_mul_i32 s5, s8, 0x600
	v_mul_f64 v[6:7], v[6:7], s[12:13]
	v_mov_b32_e32 v10, s4
	v_add_co_u32_e32 v4, vcc, s5, v4
	v_addc_co_u32_e32 v5, vcc, v5, v10, vcc
	global_store_dword v[4:5], v8, off
	v_mul_f16_sdwa v11, v57, v11 dst_sel:DWORD dst_unused:UNUSED_PAD src0_sel:WORD_1 src1_sel:DWORD
	v_and_or_b32 v6, v7, s15, v6
	v_cmp_ne_u32_e32 vcc, 0, v6
	v_cndmask_b32_e64 v6, 0, 1, vcc
	v_lshrrev_b32_e32 v8, 8, v7
	v_bfe_u32 v10, v7, 20, 11
	v_and_or_b32 v6, v8, s14, v6
	v_sub_u32_e32 v12, 0x3f1, v10
	v_or_b32_e32 v8, 0x1000, v6
	v_med3_i32 v12, v12, 0, 13
	v_lshrrev_b32_e32 v13, v12, v8
	v_lshlrev_b32_e32 v12, v12, v13
	v_fma_f16 v9, v57, v9, -v11
	v_cmp_ne_u32_e32 vcc, v12, v8
	v_cvt_f32_f16_e32 v9, v9
	v_cndmask_b32_e64 v8, 0, 1, vcc
	v_add_u32_e32 v10, 0xfffffc10, v10
	v_or_b32_e32 v8, v13, v8
	v_lshl_or_b32 v12, v10, 12, v6
	v_cmp_gt_i32_e32 vcc, 1, v10
	v_cndmask_b32_e32 v8, v12, v8, vcc
	v_and_b32_e32 v12, 7, v8
	v_lshrrev_b32_e32 v11, 2, v8
	v_cvt_f64_f32_e32 v[8:9], v9
	v_cmp_lt_i32_e32 vcc, 5, v12
	v_cmp_eq_u32_e64 s[2:3], 3, v12
	s_or_b64 vcc, s[2:3], vcc
	v_mul_f64 v[8:9], v[8:9], s[12:13]
	v_addc_co_u32_e32 v11, vcc, 0, v11, vcc
	v_cmp_gt_i32_e32 vcc, 31, v10
	v_cndmask_b32_e32 v11, v2, v11, vcc
	v_cmp_ne_u32_e32 vcc, 0, v6
	v_cndmask_b32_e64 v6, 0, 1, vcc
	v_lshl_or_b32 v6, v6, 9, v2
	v_cmp_eq_u32_e32 vcc, s10, v10
	v_cndmask_b32_e32 v6, v11, v6, vcc
	v_lshrrev_b32_e32 v7, 16, v7
	v_and_or_b32 v12, v7, s11, v6
	v_and_or_b32 v6, v9, s15, v8
	v_cmp_ne_u32_e32 vcc, 0, v6
	v_cndmask_b32_e64 v6, 0, 1, vcc
	v_lshrrev_b32_e32 v7, 8, v9
	v_bfe_u32 v8, v9, 20, 11
	v_and_or_b32 v6, v7, s14, v6
	v_sub_u32_e32 v10, 0x3f1, v8
	v_or_b32_e32 v7, 0x1000, v6
	v_med3_i32 v10, v10, 0, 13
	v_lshrrev_b32_e32 v11, v10, v7
	v_lshlrev_b32_e32 v10, v10, v11
	v_cmp_ne_u32_e32 vcc, v10, v7
	v_cndmask_b32_e64 v7, 0, 1, vcc
	v_add_u32_e32 v8, 0xfffffc10, v8
	v_or_b32_e32 v7, v11, v7
	v_lshl_or_b32 v10, v8, 12, v6
	v_cmp_gt_i32_e32 vcc, 1, v8
	v_cndmask_b32_e32 v7, v10, v7, vcc
	v_and_b32_e32 v10, 7, v7
	v_cmp_lt_i32_e32 vcc, 5, v10
	v_cmp_eq_u32_e64 s[2:3], 3, v10
	v_lshrrev_b32_e32 v7, 2, v7
	s_or_b64 vcc, s[2:3], vcc
	v_addc_co_u32_e32 v7, vcc, 0, v7, vcc
	ds_read2st64_b32 v[10:11], v48 offset0:15 offset1:18
	v_cmp_gt_i32_e32 vcc, 31, v8
	v_cndmask_b32_e32 v13, v2, v7, vcc
	v_cmp_ne_u32_e32 vcc, 0, v6
	v_cndmask_b32_e64 v14, 0, 1, vcc
	v_lshl_or_b32 v14, v14, 9, v2
	v_cmp_eq_u32_e32 vcc, s10, v8
	v_cndmask_b32_e32 v13, v13, v14, vcc
	s_waitcnt lgkmcnt(0)
	v_lshrrev_b32_e32 v14, 16, v10
	v_mul_f16_sdwa v8, v56, v14 dst_sel:DWORD dst_unused:UNUSED_PAD src0_sel:WORD_1 src1_sel:DWORD
	v_mad_u64_u32 v[6:7], s[2:3], s8, v55, 0
	v_fma_f16 v8, v56, v10, v8
	v_cvt_f32_f16_e32 v15, v8
	v_mad_u64_u32 v[7:8], s[2:3], s9, v55, v[7:8]
	v_lshrrev_b32_e32 v16, 16, v9
	v_cvt_f64_f32_e32 v[8:9], v15
	v_lshlrev_b64 v[6:7], 2, v[6:7]
	v_and_or_b32 v13, v16, s11, v13
	v_and_b32_e32 v12, 0xffff, v12
	v_mul_f64 v[8:9], v[8:9], s[12:13]
	v_add_co_u32_e32 v6, vcc, v0, v6
	v_lshl_or_b32 v12, v13, 16, v12
	v_addc_co_u32_e32 v7, vcc, v3, v7, vcc
	global_store_dword v[6:7], v12, off
	v_mul_f16_sdwa v10, v56, v10 dst_sel:DWORD dst_unused:UNUSED_PAD src0_sel:WORD_1 src1_sel:DWORD
	v_and_or_b32 v6, v9, s15, v8
	v_cmp_ne_u32_e32 vcc, 0, v6
	v_cndmask_b32_e64 v6, 0, 1, vcc
	v_lshrrev_b32_e32 v7, 8, v9
	v_and_or_b32 v8, v7, s14, v6
	v_bfe_u32 v7, v9, 20, 11
	v_sub_u32_e32 v12, 0x3f1, v7
	v_or_b32_e32 v6, 0x1000, v8
	v_med3_i32 v12, v12, 0, 13
	v_lshrrev_b32_e32 v13, v12, v6
	v_lshlrev_b32_e32 v12, v12, v13
	v_cmp_ne_u32_e32 vcc, v12, v6
	v_fma_f16 v10, v56, v14, -v10
	v_cndmask_b32_e64 v6, 0, 1, vcc
	v_add_u32_e32 v12, 0xfffffc10, v7
	v_cvt_f32_f16_e32 v10, v10
	v_or_b32_e32 v6, v13, v6
	v_lshl_or_b32 v7, v12, 12, v8
	v_cmp_gt_i32_e32 vcc, 1, v12
	v_cndmask_b32_e32 v6, v7, v6, vcc
	v_and_b32_e32 v7, 7, v6
	v_cmp_lt_i32_e32 vcc, 5, v7
	v_cmp_eq_u32_e64 s[2:3], 3, v7
	v_lshrrev_b32_e32 v13, 2, v6
	v_cvt_f64_f32_e32 v[6:7], v10
	s_or_b64 vcc, s[2:3], vcc
	v_addc_co_u32_e32 v10, vcc, 0, v13, vcc
	v_mul_f64 v[6:7], v[6:7], s[12:13]
	v_cmp_gt_i32_e32 vcc, 31, v12
	v_cndmask_b32_e32 v10, v2, v10, vcc
	v_cmp_ne_u32_e32 vcc, 0, v8
	v_cndmask_b32_e64 v8, 0, 1, vcc
	v_lshl_or_b32 v8, v8, 9, v2
	v_cmp_eq_u32_e32 vcc, s10, v12
	v_cndmask_b32_e32 v8, v10, v8, vcc
	v_and_or_b32 v6, v7, s15, v6
	v_lshrrev_b32_e32 v9, 16, v9
	v_cmp_ne_u32_e32 vcc, 0, v6
	v_and_or_b32 v10, v9, s11, v8
	v_cndmask_b32_e64 v6, 0, 1, vcc
	v_lshrrev_b32_e32 v8, 8, v7
	v_bfe_u32 v9, v7, 20, 11
	v_and_or_b32 v6, v8, s14, v6
	v_sub_u32_e32 v12, 0x3f1, v9
	v_or_b32_e32 v8, 0x1000, v6
	v_med3_i32 v12, v12, 0, 13
	v_lshrrev_b32_e32 v13, v12, v8
	v_lshlrev_b32_e32 v12, v12, v13
	v_cmp_ne_u32_e32 vcc, v12, v8
	v_cndmask_b32_e64 v8, 0, 1, vcc
	v_add_u32_e32 v9, 0xfffffc10, v9
	v_or_b32_e32 v8, v13, v8
	v_lshl_or_b32 v12, v9, 12, v6
	v_cmp_gt_i32_e32 vcc, 1, v9
	v_cndmask_b32_e32 v8, v12, v8, vcc
	v_and_b32_e32 v12, 7, v8
	v_cmp_lt_i32_e32 vcc, 5, v12
	v_cmp_eq_u32_e64 s[2:3], 3, v12
	v_lshrrev_b32_e32 v12, 16, v11
	v_lshrrev_b32_e32 v8, 2, v8
	s_or_b64 vcc, s[2:3], vcc
	v_mul_f16_sdwa v13, v54, v12 dst_sel:DWORD dst_unused:UNUSED_PAD src0_sel:WORD_1 src1_sel:DWORD
	v_addc_co_u32_e32 v8, vcc, 0, v8, vcc
	v_fma_f16 v13, v54, v11, v13
	v_cmp_gt_i32_e32 vcc, 31, v9
	v_cvt_f32_f16_e32 v13, v13
	v_cndmask_b32_e32 v8, v2, v8, vcc
	v_cmp_ne_u32_e32 vcc, 0, v6
	v_cndmask_b32_e64 v6, 0, 1, vcc
	v_lshl_or_b32 v6, v6, 9, v2
	v_cmp_eq_u32_e32 vcc, s10, v9
	v_cndmask_b32_e32 v6, v8, v6, vcc
	v_cvt_f64_f32_e32 v[8:9], v13
	v_lshrrev_b32_e32 v7, 16, v7
	v_and_or_b32 v13, v7, s11, v6
	v_add_co_u32_e32 v4, vcc, s5, v4
	v_mul_f64 v[6:7], v[8:9], s[12:13]
	v_mov_b32_e32 v9, s4
	v_and_b32_e32 v10, 0xffff, v10
	v_addc_co_u32_e32 v5, vcc, v5, v9, vcc
	v_lshl_or_b32 v8, v13, 16, v10
	global_store_dword v[4:5], v8, off
	v_mul_f16_sdwa v11, v54, v11 dst_sel:DWORD dst_unused:UNUSED_PAD src0_sel:WORD_1 src1_sel:DWORD
	v_and_or_b32 v6, v7, s15, v6
	v_cmp_ne_u32_e32 vcc, 0, v6
	v_cndmask_b32_e64 v6, 0, 1, vcc
	v_lshrrev_b32_e32 v8, 8, v7
	v_bfe_u32 v9, v7, 20, 11
	v_and_or_b32 v6, v8, s14, v6
	v_sub_u32_e32 v10, 0x3f1, v9
	v_or_b32_e32 v8, 0x1000, v6
	v_med3_i32 v10, v10, 0, 13
	v_lshrrev_b32_e32 v13, v10, v8
	v_lshlrev_b32_e32 v10, v10, v13
	v_cmp_ne_u32_e32 vcc, v10, v8
	v_fma_f16 v11, v54, v12, -v11
	v_cndmask_b32_e64 v8, 0, 1, vcc
	v_add_u32_e32 v10, 0xfffffc10, v9
	v_cvt_f32_f16_e32 v11, v11
	v_or_b32_e32 v8, v13, v8
	v_lshl_or_b32 v9, v10, 12, v6
	v_cmp_gt_i32_e32 vcc, 1, v10
	v_cndmask_b32_e32 v8, v9, v8, vcc
	v_and_b32_e32 v9, 7, v8
	v_cmp_lt_i32_e32 vcc, 5, v9
	v_cmp_eq_u32_e64 s[2:3], 3, v9
	v_lshrrev_b32_e32 v12, 2, v8
	v_cvt_f64_f32_e32 v[8:9], v11
	s_or_b64 vcc, s[2:3], vcc
	v_addc_co_u32_e32 v11, vcc, 0, v12, vcc
	v_mul_f64 v[8:9], v[8:9], s[12:13]
	v_cmp_gt_i32_e32 vcc, 31, v10
	v_cndmask_b32_e32 v11, v2, v11, vcc
	v_cmp_ne_u32_e32 vcc, 0, v6
	v_cndmask_b32_e64 v6, 0, 1, vcc
	v_lshl_or_b32 v6, v6, 9, v2
	v_cmp_eq_u32_e32 vcc, s10, v10
	v_cndmask_b32_e32 v6, v11, v6, vcc
	v_lshrrev_b32_e32 v7, 16, v7
	v_and_or_b32 v12, v7, s11, v6
	v_and_or_b32 v6, v9, s15, v8
	v_cmp_ne_u32_e32 vcc, 0, v6
	v_cndmask_b32_e64 v6, 0, 1, vcc
	v_lshrrev_b32_e32 v7, 8, v9
	v_bfe_u32 v8, v9, 20, 11
	v_and_or_b32 v6, v7, s14, v6
	v_sub_u32_e32 v10, 0x3f1, v8
	v_or_b32_e32 v7, 0x1000, v6
	v_med3_i32 v10, v10, 0, 13
	v_lshrrev_b32_e32 v11, v10, v7
	v_lshlrev_b32_e32 v10, v10, v11
	v_cmp_ne_u32_e32 vcc, v10, v7
	v_cndmask_b32_e64 v7, 0, 1, vcc
	v_add_u32_e32 v8, 0xfffffc10, v8
	v_or_b32_e32 v7, v11, v7
	v_lshl_or_b32 v10, v8, 12, v6
	v_cmp_gt_i32_e32 vcc, 1, v8
	v_cndmask_b32_e32 v7, v10, v7, vcc
	v_and_b32_e32 v10, 7, v7
	v_cmp_lt_i32_e32 vcc, 5, v10
	v_cmp_eq_u32_e64 s[2:3], 3, v10
	v_lshrrev_b32_e32 v7, 2, v7
	s_or_b64 vcc, s[2:3], vcc
	v_addc_co_u32_e32 v7, vcc, 0, v7, vcc
	ds_read2st64_b32 v[10:11], v48 offset0:21 offset1:24
	v_cmp_gt_i32_e32 vcc, 31, v8
	v_cndmask_b32_e32 v13, v2, v7, vcc
	v_cmp_ne_u32_e32 vcc, 0, v6
	v_cndmask_b32_e64 v14, 0, 1, vcc
	v_lshl_or_b32 v14, v14, 9, v2
	v_cmp_eq_u32_e32 vcc, s10, v8
	v_cndmask_b32_e32 v13, v13, v14, vcc
	s_waitcnt lgkmcnt(0)
	v_lshrrev_b32_e32 v14, 16, v10
	v_mul_f16_sdwa v8, v53, v14 dst_sel:DWORD dst_unused:UNUSED_PAD src0_sel:WORD_1 src1_sel:DWORD
	v_mad_u64_u32 v[6:7], s[2:3], s8, v52, 0
	v_fma_f16 v8, v53, v10, v8
	v_cvt_f32_f16_e32 v15, v8
	v_mad_u64_u32 v[7:8], s[2:3], s9, v52, v[7:8]
	v_lshrrev_b32_e32 v16, 16, v9
	v_cvt_f64_f32_e32 v[8:9], v15
	v_lshlrev_b64 v[6:7], 2, v[6:7]
	v_and_or_b32 v13, v16, s11, v13
	v_and_b32_e32 v12, 0xffff, v12
	v_mul_f64 v[8:9], v[8:9], s[12:13]
	v_add_co_u32_e32 v6, vcc, v0, v6
	v_lshl_or_b32 v12, v13, 16, v12
	v_addc_co_u32_e32 v7, vcc, v3, v7, vcc
	global_store_dword v[6:7], v12, off
	v_mul_f16_sdwa v10, v53, v10 dst_sel:DWORD dst_unused:UNUSED_PAD src0_sel:WORD_1 src1_sel:DWORD
	v_and_or_b32 v6, v9, s15, v8
	v_cmp_ne_u32_e32 vcc, 0, v6
	v_cndmask_b32_e64 v6, 0, 1, vcc
	v_lshrrev_b32_e32 v7, 8, v9
	v_and_or_b32 v8, v7, s14, v6
	v_bfe_u32 v7, v9, 20, 11
	v_sub_u32_e32 v12, 0x3f1, v7
	v_or_b32_e32 v6, 0x1000, v8
	v_med3_i32 v12, v12, 0, 13
	v_lshrrev_b32_e32 v13, v12, v6
	v_lshlrev_b32_e32 v12, v12, v13
	v_cmp_ne_u32_e32 vcc, v12, v6
	v_fma_f16 v10, v53, v14, -v10
	v_cndmask_b32_e64 v6, 0, 1, vcc
	v_add_u32_e32 v12, 0xfffffc10, v7
	v_cvt_f32_f16_e32 v10, v10
	v_or_b32_e32 v6, v13, v6
	v_lshl_or_b32 v7, v12, 12, v8
	v_cmp_gt_i32_e32 vcc, 1, v12
	v_cndmask_b32_e32 v6, v7, v6, vcc
	v_and_b32_e32 v7, 7, v6
	v_cmp_lt_i32_e32 vcc, 5, v7
	v_cmp_eq_u32_e64 s[2:3], 3, v7
	v_lshrrev_b32_e32 v13, 2, v6
	v_cvt_f64_f32_e32 v[6:7], v10
	s_or_b64 vcc, s[2:3], vcc
	v_addc_co_u32_e32 v10, vcc, 0, v13, vcc
	v_mul_f64 v[6:7], v[6:7], s[12:13]
	v_cmp_gt_i32_e32 vcc, 31, v12
	v_cndmask_b32_e32 v10, v2, v10, vcc
	v_cmp_ne_u32_e32 vcc, 0, v8
	v_cndmask_b32_e64 v8, 0, 1, vcc
	v_lshl_or_b32 v8, v8, 9, v2
	v_cmp_eq_u32_e32 vcc, s10, v12
	v_cndmask_b32_e32 v8, v10, v8, vcc
	v_and_or_b32 v6, v7, s15, v6
	v_lshrrev_b32_e32 v9, 16, v9
	v_cmp_ne_u32_e32 vcc, 0, v6
	v_and_or_b32 v10, v9, s11, v8
	v_cndmask_b32_e64 v6, 0, 1, vcc
	v_lshrrev_b32_e32 v8, 8, v7
	v_bfe_u32 v9, v7, 20, 11
	v_and_or_b32 v6, v8, s14, v6
	v_sub_u32_e32 v12, 0x3f1, v9
	v_or_b32_e32 v8, 0x1000, v6
	v_med3_i32 v12, v12, 0, 13
	v_lshrrev_b32_e32 v13, v12, v8
	v_lshlrev_b32_e32 v12, v12, v13
	v_cmp_ne_u32_e32 vcc, v12, v8
	v_cndmask_b32_e64 v8, 0, 1, vcc
	v_add_u32_e32 v9, 0xfffffc10, v9
	v_or_b32_e32 v8, v13, v8
	v_lshl_or_b32 v12, v9, 12, v6
	v_cmp_gt_i32_e32 vcc, 1, v9
	v_cndmask_b32_e32 v8, v12, v8, vcc
	v_and_b32_e32 v12, 7, v8
	v_cmp_lt_i32_e32 vcc, 5, v12
	v_cmp_eq_u32_e64 s[2:3], 3, v12
	v_lshrrev_b32_e32 v12, 16, v11
	v_lshrrev_b32_e32 v8, 2, v8
	s_or_b64 vcc, s[2:3], vcc
	v_mul_f16_sdwa v13, v51, v12 dst_sel:DWORD dst_unused:UNUSED_PAD src0_sel:WORD_1 src1_sel:DWORD
	v_addc_co_u32_e32 v8, vcc, 0, v8, vcc
	v_fma_f16 v13, v51, v11, v13
	v_cmp_gt_i32_e32 vcc, 31, v9
	v_cvt_f32_f16_e32 v13, v13
	v_cndmask_b32_e32 v8, v2, v8, vcc
	v_cmp_ne_u32_e32 vcc, 0, v6
	v_cndmask_b32_e64 v6, 0, 1, vcc
	v_lshl_or_b32 v6, v6, 9, v2
	v_cmp_eq_u32_e32 vcc, s10, v9
	v_cndmask_b32_e32 v6, v8, v6, vcc
	v_cvt_f64_f32_e32 v[8:9], v13
	v_lshrrev_b32_e32 v7, 16, v7
	v_and_or_b32 v13, v7, s11, v6
	v_add_co_u32_e32 v4, vcc, s5, v4
	v_mul_f64 v[6:7], v[8:9], s[12:13]
	v_mov_b32_e32 v9, s4
	v_and_b32_e32 v10, 0xffff, v10
	v_addc_co_u32_e32 v5, vcc, v5, v9, vcc
	v_lshl_or_b32 v8, v13, 16, v10
	global_store_dword v[4:5], v8, off
	v_mul_f16_sdwa v11, v51, v11 dst_sel:DWORD dst_unused:UNUSED_PAD src0_sel:WORD_1 src1_sel:DWORD
	v_and_or_b32 v6, v7, s15, v6
	v_cmp_ne_u32_e32 vcc, 0, v6
	v_cndmask_b32_e64 v6, 0, 1, vcc
	v_lshrrev_b32_e32 v8, 8, v7
	v_bfe_u32 v9, v7, 20, 11
	v_and_or_b32 v6, v8, s14, v6
	v_sub_u32_e32 v10, 0x3f1, v9
	v_or_b32_e32 v8, 0x1000, v6
	v_med3_i32 v10, v10, 0, 13
	v_lshrrev_b32_e32 v13, v10, v8
	v_lshlrev_b32_e32 v10, v10, v13
	v_cmp_ne_u32_e32 vcc, v10, v8
	v_fma_f16 v11, v51, v12, -v11
	v_cndmask_b32_e64 v8, 0, 1, vcc
	v_add_u32_e32 v10, 0xfffffc10, v9
	v_cvt_f32_f16_e32 v11, v11
	v_or_b32_e32 v8, v13, v8
	v_lshl_or_b32 v9, v10, 12, v6
	v_cmp_gt_i32_e32 vcc, 1, v10
	v_cndmask_b32_e32 v8, v9, v8, vcc
	v_and_b32_e32 v9, 7, v8
	v_cmp_lt_i32_e32 vcc, 5, v9
	v_cmp_eq_u32_e64 s[2:3], 3, v9
	v_lshrrev_b32_e32 v12, 2, v8
	v_cvt_f64_f32_e32 v[8:9], v11
	s_or_b64 vcc, s[2:3], vcc
	v_addc_co_u32_e32 v11, vcc, 0, v12, vcc
	v_mul_f64 v[8:9], v[8:9], s[12:13]
	v_cmp_gt_i32_e32 vcc, 31, v10
	v_cndmask_b32_e32 v11, v2, v11, vcc
	v_cmp_ne_u32_e32 vcc, 0, v6
	v_cndmask_b32_e64 v6, 0, 1, vcc
	v_lshl_or_b32 v6, v6, 9, v2
	v_cmp_eq_u32_e32 vcc, s10, v10
	v_cndmask_b32_e32 v6, v11, v6, vcc
	v_lshrrev_b32_e32 v7, 16, v7
	v_and_or_b32 v10, v7, s11, v6
	v_and_or_b32 v6, v9, s15, v8
	v_cmp_ne_u32_e32 vcc, 0, v6
	v_cndmask_b32_e64 v6, 0, 1, vcc
	v_lshrrev_b32_e32 v7, 8, v9
	v_bfe_u32 v8, v9, 20, 11
	v_and_or_b32 v6, v7, s14, v6
	v_sub_u32_e32 v11, 0x3f1, v8
	v_or_b32_e32 v7, 0x1000, v6
	v_med3_i32 v11, v11, 0, 13
	v_lshrrev_b32_e32 v12, v11, v7
	v_lshlrev_b32_e32 v11, v11, v12
	v_cmp_ne_u32_e32 vcc, v11, v7
	v_cndmask_b32_e64 v7, 0, 1, vcc
	v_add_u32_e32 v8, 0xfffffc10, v8
	v_or_b32_e32 v7, v12, v7
	v_lshl_or_b32 v11, v8, 12, v6
	v_cmp_gt_i32_e32 vcc, 1, v8
	v_cndmask_b32_e32 v7, v11, v7, vcc
	v_and_b32_e32 v11, 7, v7
	v_cmp_lt_i32_e32 vcc, 5, v11
	v_cmp_eq_u32_e64 s[2:3], 3, v11
	v_lshrrev_b32_e32 v7, 2, v7
	s_or_b64 vcc, s[2:3], vcc
	v_addc_co_u32_e32 v7, vcc, 0, v7, vcc
	v_cmp_gt_i32_e32 vcc, 31, v8
	v_cndmask_b32_e32 v11, v2, v7, vcc
	v_cmp_ne_u32_e32 vcc, 0, v6
	v_cndmask_b32_e64 v12, 0, 1, vcc
	v_lshl_or_b32 v12, v12, 9, v2
	v_cmp_eq_u32_e32 vcc, s10, v8
	v_cndmask_b32_e32 v11, v11, v12, vcc
	v_lshrrev_b32_e32 v12, 16, v1
	v_mul_f16_sdwa v8, v49, v12 dst_sel:DWORD dst_unused:UNUSED_PAD src0_sel:WORD_1 src1_sel:DWORD
	v_mad_u64_u32 v[6:7], s[2:3], s8, v50, 0
	v_fma_f16 v8, v49, v1, v8
	v_cvt_f32_f16_e32 v13, v8
	v_mad_u64_u32 v[7:8], s[2:3], s9, v50, v[7:8]
	v_lshrrev_b32_e32 v14, 16, v9
	v_cvt_f64_f32_e32 v[8:9], v13
	v_lshlrev_b64 v[6:7], 2, v[6:7]
	v_and_or_b32 v11, v14, s11, v11
	v_add_co_u32_e32 v6, vcc, v0, v6
	v_mul_f64 v[8:9], v[8:9], s[12:13]
	v_and_b32_e32 v10, 0xffff, v10
	v_addc_co_u32_e32 v7, vcc, v3, v7, vcc
	v_lshl_or_b32 v10, v11, 16, v10
	global_store_dword v[6:7], v10, off
	v_mul_f16_sdwa v1, v49, v1 dst_sel:DWORD dst_unused:UNUSED_PAD src0_sel:WORD_1 src1_sel:DWORD
	v_fma_f16 v1, v49, v12, -v1
	v_and_or_b32 v0, v9, s15, v8
	v_cmp_ne_u32_e32 vcc, 0, v0
	v_cndmask_b32_e64 v0, 0, 1, vcc
	v_lshrrev_b32_e32 v3, 8, v9
	v_bfe_u32 v6, v9, 20, 11
	v_and_or_b32 v3, v3, s14, v0
	v_sub_u32_e32 v7, 0x3f1, v6
	v_or_b32_e32 v0, 0x1000, v3
	v_med3_i32 v7, v7, 0, 13
	v_lshrrev_b32_e32 v8, v7, v0
	v_lshlrev_b32_e32 v7, v7, v8
	v_cmp_ne_u32_e32 vcc, v7, v0
	v_cndmask_b32_e64 v0, 0, 1, vcc
	v_add_u32_e32 v6, 0xfffffc10, v6
	v_cvt_f32_f16_e32 v1, v1
	v_or_b32_e32 v0, v8, v0
	v_lshl_or_b32 v7, v6, 12, v3
	v_cmp_gt_i32_e32 vcc, 1, v6
	v_cndmask_b32_e32 v0, v7, v0, vcc
	v_and_b32_e32 v7, 7, v0
	v_cmp_lt_i32_e32 vcc, 5, v7
	v_cmp_eq_u32_e64 s[2:3], 3, v7
	v_lshrrev_b32_e32 v7, 2, v0
	v_cvt_f64_f32_e32 v[0:1], v1
	s_or_b64 vcc, s[2:3], vcc
	v_addc_co_u32_e32 v7, vcc, 0, v7, vcc
	v_mul_f64 v[0:1], v[0:1], s[12:13]
	v_cmp_gt_i32_e32 vcc, 31, v6
	v_cndmask_b32_e32 v7, v2, v7, vcc
	v_cmp_ne_u32_e32 vcc, 0, v3
	v_cndmask_b32_e64 v3, 0, 1, vcc
	v_lshl_or_b32 v3, v3, 9, v2
	v_cmp_eq_u32_e32 vcc, s10, v6
	v_cndmask_b32_e32 v3, v7, v3, vcc
	v_and_or_b32 v0, v1, s15, v0
	v_lshrrev_b32_e32 v6, 16, v9
	v_cmp_ne_u32_e32 vcc, 0, v0
	v_and_or_b32 v3, v6, s11, v3
	v_cndmask_b32_e64 v0, 0, 1, vcc
	v_lshrrev_b32_e32 v6, 8, v1
	v_bfe_u32 v7, v1, 20, 11
	v_and_or_b32 v0, v6, s14, v0
	v_sub_u32_e32 v8, 0x3f1, v7
	v_or_b32_e32 v6, 0x1000, v0
	v_med3_i32 v8, v8, 0, 13
	v_lshrrev_b32_e32 v9, v8, v6
	v_lshlrev_b32_e32 v8, v8, v9
	v_cmp_ne_u32_e32 vcc, v8, v6
	v_cndmask_b32_e64 v6, 0, 1, vcc
	v_add_u32_e32 v7, 0xfffffc10, v7
	v_or_b32_e32 v6, v9, v6
	v_lshl_or_b32 v8, v7, 12, v0
	v_cmp_gt_i32_e32 vcc, 1, v7
	v_cndmask_b32_e32 v6, v8, v6, vcc
	v_and_b32_e32 v8, 7, v6
	v_cmp_lt_i32_e32 vcc, 5, v8
	v_cmp_eq_u32_e64 s[2:3], 3, v8
	v_lshrrev_b32_e32 v6, 2, v6
	s_or_b64 vcc, s[2:3], vcc
	v_addc_co_u32_e32 v6, vcc, 0, v6, vcc
	v_cmp_gt_i32_e32 vcc, 31, v7
	v_cndmask_b32_e32 v6, v2, v6, vcc
	v_cmp_ne_u32_e32 vcc, 0, v0
	v_cndmask_b32_e64 v0, 0, 1, vcc
	v_lshl_or_b32 v0, v0, 9, v2
	v_cmp_eq_u32_e32 vcc, s10, v7
	v_cndmask_b32_e32 v0, v6, v0, vcc
	v_lshrrev_b32_e32 v1, 16, v1
	v_and_or_b32 v0, v1, s11, v0
	v_and_b32_e32 v1, 0xffff, v3
	v_lshl_or_b32 v3, v0, 16, v1
	v_mov_b32_e32 v1, s4
	v_add_co_u32_e32 v0, vcc, s5, v4
	s_movk_i32 s16, 0x1000
	v_addc_co_u32_e32 v1, vcc, v5, v1, vcc
	global_store_dword v[0:1], v3, off
	s_and_b64 exec, exec, s[0:1]
	s_cbranch_execz .LBB0_23
; %bb.22:
	global_load_dword v3, v[27:28], off offset:480
	v_add_u32_e32 v4, 0xe0, v48
	ds_read2st64_b32 v[5:6], v4 offset0:1 offset1:4
	s_waitcnt lgkmcnt(0)
	v_lshrrev_b32_e32 v7, 16, v5
	s_waitcnt vmcnt(0)
	v_mul_f16_sdwa v8, v7, v3 dst_sel:DWORD dst_unused:UNUSED_PAD src0_sel:DWORD src1_sel:WORD_1
	v_fma_f16 v8, v5, v3, v8
	v_mul_f16_sdwa v5, v5, v3 dst_sel:DWORD dst_unused:UNUSED_PAD src0_sel:DWORD src1_sel:WORD_1
	v_cvt_f32_f16_e32 v8, v8
	v_fma_f16 v3, v3, v7, -v5
	v_cvt_f32_f16_e32 v3, v3
	v_cvt_f64_f32_e32 v[7:8], v8
	v_cvt_f64_f32_e32 v[9:10], v3
	v_mov_b32_e32 v3, 0xffffe6e0
	v_mul_f64 v[7:8], v[7:8], s[12:13]
	v_mad_u64_u32 v[0:1], s[0:1], s8, v3, v[0:1]
	v_mul_f64 v[9:10], v[9:10], s[12:13]
	s_mul_i32 s0, s9, 0xffffe6e0
	s_sub_i32 s0, s0, s8
	v_add_u32_e32 v1, s0, v1
	v_and_or_b32 v3, v8, s15, v7
	v_cmp_ne_u32_e32 vcc, 0, v3
	v_lshrrev_b32_e32 v5, 8, v8
	v_and_or_b32 v9, v10, s15, v9
	v_bfe_u32 v7, v8, 20, 11
	v_cndmask_b32_e64 v3, 0, 1, vcc
	v_cmp_ne_u32_e32 vcc, 0, v9
	v_lshrrev_b32_e32 v11, 8, v10
	v_bfe_u32 v12, v10, 20, 11
	v_sub_u32_e32 v13, 0x3f1, v7
	v_cndmask_b32_e64 v9, 0, 1, vcc
	v_and_or_b32 v3, v5, s14, v3
	v_sub_u32_e32 v14, 0x3f1, v12
	v_med3_i32 v5, v13, 0, 13
	v_and_or_b32 v9, v11, s14, v9
	v_or_b32_e32 v13, 0x1000, v3
	v_add_u32_e32 v7, 0xfffffc10, v7
	v_med3_i32 v11, v14, 0, 13
	v_cmp_ne_u32_e32 vcc, 0, v3
	v_or_b32_e32 v15, 0x1000, v9
	v_lshrrev_b32_e32 v17, v5, v13
	v_add_u32_e32 v12, 0xfffffc10, v12
	v_lshl_or_b32 v14, v7, 12, v3
	v_cndmask_b32_e64 v3, 0, 1, vcc
	v_cmp_ne_u32_e32 vcc, 0, v9
	v_lshrrev_b32_e32 v18, v11, v15
	v_lshlrev_b32_e32 v5, v5, v17
	v_lshl_or_b32 v16, v12, 12, v9
	v_cndmask_b32_e64 v9, 0, 1, vcc
	v_lshlrev_b32_e32 v11, v11, v18
	v_cmp_ne_u32_e32 vcc, v5, v13
	v_cndmask_b32_e64 v5, 0, 1, vcc
	v_cmp_ne_u32_e32 vcc, v11, v15
	v_cndmask_b32_e64 v11, 0, 1, vcc
	v_or_b32_e32 v5, v17, v5
	v_cmp_gt_i32_e32 vcc, 1, v7
	v_cndmask_b32_e32 v5, v14, v5, vcc
	v_or_b32_e32 v11, v18, v11
	v_cmp_gt_i32_e32 vcc, 1, v12
	v_and_b32_e32 v13, 7, v5
	v_cndmask_b32_e32 v11, v16, v11, vcc
	v_cmp_lt_i32_e32 vcc, 5, v13
	v_cmp_eq_u32_e64 s[0:1], 3, v13
	v_lshrrev_b32_e32 v5, 2, v5
	v_and_b32_e32 v14, 7, v11
	s_or_b64 vcc, s[0:1], vcc
	v_cmp_lt_i32_e64 s[2:3], 5, v14
	v_cmp_eq_u32_e64 s[4:5], 3, v14
	v_addc_co_u32_e32 v5, vcc, 0, v5, vcc
	v_lshrrev_b32_e32 v11, 2, v11
	s_or_b64 vcc, s[4:5], s[2:3]
	v_addc_co_u32_e32 v11, vcc, 0, v11, vcc
	v_cmp_gt_i32_e32 vcc, 31, v7
	v_cndmask_b32_e32 v5, v2, v5, vcc
	v_cmp_gt_i32_e32 vcc, 31, v12
	v_lshl_or_b32 v3, v3, 9, v2
	v_cndmask_b32_e32 v11, v2, v11, vcc
	v_cmp_eq_u32_e32 vcc, s10, v7
	v_lshrrev_b32_e32 v8, 16, v8
	v_lshl_or_b32 v9, v9, 9, v2
	v_cndmask_b32_e32 v3, v5, v3, vcc
	v_cmp_eq_u32_e32 vcc, s10, v12
	v_lshrrev_b32_e32 v10, 16, v10
	v_cndmask_b32_e32 v5, v11, v9, vcc
	v_and_or_b32 v3, v8, s11, v3
	v_and_or_b32 v5, v10, s11, v5
	v_and_b32_e32 v3, 0xffff, v3
	v_lshl_or_b32 v3, v5, 16, v3
	global_store_dword v[0:1], v3, off
	global_load_dword v3, v[27:28], off offset:1248
	v_lshrrev_b32_e32 v5, 16, v6
	v_add_co_u32_e32 v0, vcc, s6, v0
	s_waitcnt vmcnt(0)
	v_mul_f16_sdwa v7, v5, v3 dst_sel:DWORD dst_unused:UNUSED_PAD src0_sel:DWORD src1_sel:WORD_1
	v_fma_f16 v7, v6, v3, v7
	v_mul_f16_sdwa v6, v6, v3 dst_sel:DWORD dst_unused:UNUSED_PAD src0_sel:DWORD src1_sel:WORD_1
	v_cvt_f32_f16_e32 v7, v7
	v_fma_f16 v3, v3, v5, -v6
	v_cvt_f32_f16_e32 v3, v3
	v_cvt_f64_f32_e32 v[5:6], v7
	v_cvt_f64_f32_e32 v[7:8], v3
	v_mov_b32_e32 v3, s7
	v_mul_f64 v[5:6], v[5:6], s[12:13]
	v_addc_co_u32_e32 v1, vcc, v1, v3, vcc
	v_mul_f64 v[7:8], v[7:8], s[12:13]
	v_and_or_b32 v5, v6, s15, v5
	v_cmp_ne_u32_e32 vcc, 0, v5
	v_lshrrev_b32_e32 v9, 8, v6
	v_and_or_b32 v7, v8, s15, v7
	v_bfe_u32 v10, v6, 20, 11
	v_cndmask_b32_e64 v5, 0, 1, vcc
	v_cmp_ne_u32_e32 vcc, 0, v7
	v_lshrrev_b32_e32 v11, 8, v8
	v_bfe_u32 v12, v8, 20, 11
	v_sub_u32_e32 v13, 0x3f1, v10
	v_cndmask_b32_e64 v7, 0, 1, vcc
	v_and_or_b32 v5, v9, s14, v5
	v_sub_u32_e32 v14, 0x3f1, v12
	v_med3_i32 v9, v13, 0, 13
	v_and_or_b32 v7, v11, s14, v7
	v_or_b32_e32 v13, 0x1000, v5
	v_add_u32_e32 v10, 0xfffffc10, v10
	v_med3_i32 v11, v14, 0, 13
	v_cmp_ne_u32_e32 vcc, 0, v5
	v_or_b32_e32 v15, 0x1000, v7
	v_lshrrev_b32_e32 v17, v9, v13
	v_add_u32_e32 v12, 0xfffffc10, v12
	v_lshl_or_b32 v14, v10, 12, v5
	v_cndmask_b32_e64 v5, 0, 1, vcc
	v_cmp_ne_u32_e32 vcc, 0, v7
	v_lshrrev_b32_e32 v18, v11, v15
	v_lshlrev_b32_e32 v9, v9, v17
	v_lshl_or_b32 v16, v12, 12, v7
	v_cndmask_b32_e64 v7, 0, 1, vcc
	v_lshlrev_b32_e32 v11, v11, v18
	v_cmp_ne_u32_e32 vcc, v9, v13
	v_cndmask_b32_e64 v9, 0, 1, vcc
	v_cmp_ne_u32_e32 vcc, v11, v15
	v_cndmask_b32_e64 v11, 0, 1, vcc
	v_or_b32_e32 v9, v17, v9
	v_cmp_gt_i32_e32 vcc, 1, v10
	v_cndmask_b32_e32 v9, v14, v9, vcc
	v_or_b32_e32 v11, v18, v11
	v_cmp_gt_i32_e32 vcc, 1, v12
	v_and_b32_e32 v13, 7, v9
	v_cndmask_b32_e32 v11, v16, v11, vcc
	v_cmp_lt_i32_e32 vcc, 5, v13
	v_cmp_eq_u32_e64 s[0:1], 3, v13
	v_lshrrev_b32_e32 v9, 2, v9
	v_and_b32_e32 v14, 7, v11
	s_or_b64 vcc, s[0:1], vcc
	v_cmp_lt_i32_e64 s[2:3], 5, v14
	v_cmp_eq_u32_e64 s[4:5], 3, v14
	v_addc_co_u32_e32 v9, vcc, 0, v9, vcc
	v_lshrrev_b32_e32 v11, 2, v11
	s_or_b64 vcc, s[4:5], s[2:3]
	v_addc_co_u32_e32 v11, vcc, 0, v11, vcc
	v_cmp_gt_i32_e32 vcc, 31, v10
	v_cndmask_b32_e32 v9, v2, v9, vcc
	v_cmp_gt_i32_e32 vcc, 31, v12
	v_lshl_or_b32 v5, v5, 9, v2
	v_cndmask_b32_e32 v11, v2, v11, vcc
	v_cmp_eq_u32_e32 vcc, s10, v10
	v_lshrrev_b32_e32 v6, 16, v6
	v_lshl_or_b32 v7, v7, 9, v2
	v_cndmask_b32_e32 v5, v9, v5, vcc
	v_cmp_eq_u32_e32 vcc, s10, v12
	v_lshrrev_b32_e32 v8, 16, v8
	v_cndmask_b32_e32 v7, v11, v7, vcc
	v_and_or_b32 v5, v6, s11, v5
	v_and_or_b32 v6, v8, s11, v7
	v_and_b32_e32 v5, 0xffff, v5
	v_lshl_or_b32 v5, v6, 16, v5
	global_store_dword v[0:1], v5, off
	global_load_dword v7, v[27:28], off offset:2016
	ds_read2st64_b32 v[5:6], v4 offset0:7 offset1:10
	v_add_co_u32_e32 v0, vcc, s6, v0
	v_addc_co_u32_e32 v1, vcc, v1, v3, vcc
	s_waitcnt lgkmcnt(0)
	v_lshrrev_b32_e32 v8, 16, v5
	s_waitcnt vmcnt(0)
	v_mul_f16_sdwa v9, v8, v7 dst_sel:DWORD dst_unused:UNUSED_PAD src0_sel:DWORD src1_sel:WORD_1
	v_fma_f16 v9, v5, v7, v9
	v_mul_f16_sdwa v5, v5, v7 dst_sel:DWORD dst_unused:UNUSED_PAD src0_sel:DWORD src1_sel:WORD_1
	v_cvt_f32_f16_e32 v9, v9
	v_fma_f16 v5, v7, v8, -v5
	v_cvt_f32_f16_e32 v5, v5
	v_cvt_f64_f32_e32 v[7:8], v9
	v_cvt_f64_f32_e32 v[9:10], v5
	v_mul_f64 v[7:8], v[7:8], s[12:13]
	v_mul_f64 v[9:10], v[9:10], s[12:13]
	v_and_or_b32 v5, v8, s15, v7
	v_cmp_ne_u32_e32 vcc, 0, v5
	v_and_or_b32 v9, v10, s15, v9
	v_lshrrev_b32_e32 v7, 8, v8
	v_bfe_u32 v11, v8, 20, 11
	v_cndmask_b32_e64 v5, 0, 1, vcc
	v_cmp_ne_u32_e32 vcc, 0, v9
	v_lshrrev_b32_e32 v12, 8, v10
	v_bfe_u32 v13, v10, 20, 11
	v_sub_u32_e32 v14, 0x3f1, v11
	v_cndmask_b32_e64 v9, 0, 1, vcc
	v_and_or_b32 v5, v7, s14, v5
	v_sub_u32_e32 v15, 0x3f1, v13
	v_med3_i32 v7, v14, 0, 13
	v_and_or_b32 v9, v12, s14, v9
	v_or_b32_e32 v14, 0x1000, v5
	v_add_u32_e32 v11, 0xfffffc10, v11
	v_med3_i32 v12, v15, 0, 13
	v_cmp_ne_u32_e32 vcc, 0, v5
	v_or_b32_e32 v16, 0x1000, v9
	v_lshrrev_b32_e32 v18, v7, v14
	v_add_u32_e32 v13, 0xfffffc10, v13
	v_lshl_or_b32 v15, v11, 12, v5
	v_cndmask_b32_e64 v5, 0, 1, vcc
	v_cmp_ne_u32_e32 vcc, 0, v9
	v_lshrrev_b32_e32 v19, v12, v16
	v_lshlrev_b32_e32 v7, v7, v18
	v_lshl_or_b32 v17, v13, 12, v9
	v_cndmask_b32_e64 v9, 0, 1, vcc
	v_lshlrev_b32_e32 v12, v12, v19
	v_cmp_ne_u32_e32 vcc, v7, v14
	v_cndmask_b32_e64 v7, 0, 1, vcc
	v_cmp_ne_u32_e32 vcc, v12, v16
	v_cndmask_b32_e64 v12, 0, 1, vcc
	v_or_b32_e32 v7, v18, v7
	v_cmp_gt_i32_e32 vcc, 1, v11
	v_cndmask_b32_e32 v7, v15, v7, vcc
	v_or_b32_e32 v12, v19, v12
	v_cmp_gt_i32_e32 vcc, 1, v13
	v_and_b32_e32 v14, 7, v7
	v_cndmask_b32_e32 v12, v17, v12, vcc
	v_cmp_lt_i32_e32 vcc, 5, v14
	v_cmp_eq_u32_e64 s[0:1], 3, v14
	v_lshrrev_b32_e32 v7, 2, v7
	v_and_b32_e32 v15, 7, v12
	s_or_b64 vcc, s[0:1], vcc
	v_cmp_lt_i32_e64 s[2:3], 5, v15
	v_cmp_eq_u32_e64 s[4:5], 3, v15
	v_addc_co_u32_e32 v7, vcc, 0, v7, vcc
	v_lshrrev_b32_e32 v12, 2, v12
	s_or_b64 vcc, s[4:5], s[2:3]
	v_addc_co_u32_e32 v12, vcc, 0, v12, vcc
	v_cmp_gt_i32_e32 vcc, 31, v11
	v_cndmask_b32_e32 v7, v2, v7, vcc
	v_cmp_gt_i32_e32 vcc, 31, v13
	v_lshl_or_b32 v5, v5, 9, v2
	v_cndmask_b32_e32 v12, v2, v12, vcc
	v_cmp_eq_u32_e32 vcc, s10, v11
	v_lshrrev_b32_e32 v8, 16, v8
	v_lshl_or_b32 v9, v9, 9, v2
	v_cndmask_b32_e32 v5, v7, v5, vcc
	v_cmp_eq_u32_e32 vcc, s10, v13
	v_lshrrev_b32_e32 v10, 16, v10
	v_cndmask_b32_e32 v7, v12, v9, vcc
	v_and_or_b32 v5, v8, s11, v5
	v_and_or_b32 v7, v10, s11, v7
	v_and_b32_e32 v5, 0xffff, v5
	v_lshl_or_b32 v5, v7, 16, v5
	global_store_dword v[0:1], v5, off
	global_load_dword v5, v[27:28], off offset:2784
	v_lshrrev_b32_e32 v7, 16, v6
	v_add_co_u32_e32 v9, vcc, s6, v0
	v_addc_co_u32_e32 v10, vcc, v1, v3, vcc
	s_waitcnt vmcnt(0)
	v_mul_f16_sdwa v8, v7, v5 dst_sel:DWORD dst_unused:UNUSED_PAD src0_sel:DWORD src1_sel:WORD_1
	v_fma_f16 v8, v6, v5, v8
	v_mul_f16_sdwa v6, v6, v5 dst_sel:DWORD dst_unused:UNUSED_PAD src0_sel:DWORD src1_sel:WORD_1
	v_cvt_f32_f16_e32 v8, v8
	v_fma_f16 v5, v5, v7, -v6
	v_cvt_f32_f16_e32 v7, v5
	v_cvt_f64_f32_e32 v[5:6], v8
	v_cvt_f64_f32_e32 v[7:8], v7
	v_mul_f64 v[5:6], v[5:6], s[12:13]
	v_mul_f64 v[7:8], v[7:8], s[12:13]
	v_and_or_b32 v0, v6, s15, v5
	v_cmp_ne_u32_e32 vcc, 0, v0
	v_and_or_b32 v7, v8, s15, v7
	v_lshrrev_b32_e32 v1, 8, v6
	v_bfe_u32 v5, v6, 20, 11
	v_cndmask_b32_e64 v0, 0, 1, vcc
	v_cmp_ne_u32_e32 vcc, 0, v7
	v_lshrrev_b32_e32 v11, 8, v8
	v_bfe_u32 v12, v8, 20, 11
	v_sub_u32_e32 v13, 0x3f1, v5
	v_cndmask_b32_e64 v7, 0, 1, vcc
	v_and_or_b32 v0, v1, s14, v0
	v_sub_u32_e32 v14, 0x3f1, v12
	v_med3_i32 v1, v13, 0, 13
	v_and_or_b32 v7, v11, s14, v7
	v_or_b32_e32 v13, 0x1000, v0
	v_add_u32_e32 v5, 0xfffffc10, v5
	v_med3_i32 v11, v14, 0, 13
	v_cmp_ne_u32_e32 vcc, 0, v0
	v_or_b32_e32 v15, 0x1000, v7
	v_lshrrev_b32_e32 v17, v1, v13
	v_add_u32_e32 v12, 0xfffffc10, v12
	v_lshl_or_b32 v14, v5, 12, v0
	v_cndmask_b32_e64 v0, 0, 1, vcc
	v_cmp_ne_u32_e32 vcc, 0, v7
	v_lshrrev_b32_e32 v18, v11, v15
	v_lshlrev_b32_e32 v1, v1, v17
	v_lshl_or_b32 v16, v12, 12, v7
	v_cndmask_b32_e64 v7, 0, 1, vcc
	v_lshlrev_b32_e32 v11, v11, v18
	v_cmp_ne_u32_e32 vcc, v1, v13
	v_cndmask_b32_e64 v1, 0, 1, vcc
	v_cmp_ne_u32_e32 vcc, v11, v15
	v_cndmask_b32_e64 v11, 0, 1, vcc
	v_or_b32_e32 v1, v17, v1
	v_cmp_gt_i32_e32 vcc, 1, v5
	v_cndmask_b32_e32 v1, v14, v1, vcc
	v_or_b32_e32 v11, v18, v11
	v_cmp_gt_i32_e32 vcc, 1, v12
	v_and_b32_e32 v13, 7, v1
	v_cndmask_b32_e32 v11, v16, v11, vcc
	v_cmp_lt_i32_e32 vcc, 5, v13
	v_cmp_eq_u32_e64 s[0:1], 3, v13
	v_lshrrev_b32_e32 v1, 2, v1
	v_and_b32_e32 v14, 7, v11
	s_or_b64 vcc, s[0:1], vcc
	v_cmp_lt_i32_e64 s[2:3], 5, v14
	v_cmp_eq_u32_e64 s[4:5], 3, v14
	v_addc_co_u32_e32 v1, vcc, 0, v1, vcc
	v_lshrrev_b32_e32 v11, 2, v11
	s_or_b64 vcc, s[4:5], s[2:3]
	v_addc_co_u32_e32 v11, vcc, 0, v11, vcc
	v_cmp_gt_i32_e32 vcc, 31, v5
	v_cndmask_b32_e32 v1, v2, v1, vcc
	v_cmp_gt_i32_e32 vcc, 31, v12
	v_lshl_or_b32 v0, v0, 9, v2
	v_cndmask_b32_e32 v11, v2, v11, vcc
	v_cmp_eq_u32_e32 vcc, s10, v5
	v_lshrrev_b32_e32 v6, 16, v6
	v_lshl_or_b32 v7, v7, 9, v2
	v_cndmask_b32_e32 v0, v1, v0, vcc
	v_cmp_eq_u32_e32 vcc, s10, v12
	v_lshrrev_b32_e32 v8, 16, v8
	v_cndmask_b32_e32 v1, v11, v7, vcc
	v_and_or_b32 v0, v6, s11, v0
	v_and_or_b32 v1, v8, s11, v1
	v_and_b32_e32 v0, 0xffff, v0
	v_lshl_or_b32 v0, v1, 16, v0
	global_store_dword v[9:10], v0, off
	global_load_dword v0, v[27:28], off offset:3552
	ds_read2st64_b32 v[5:6], v4 offset0:13 offset1:16
	s_waitcnt lgkmcnt(0)
	v_lshrrev_b32_e32 v1, 16, v5
	s_waitcnt vmcnt(0)
	v_mul_f16_sdwa v7, v1, v0 dst_sel:DWORD dst_unused:UNUSED_PAD src0_sel:DWORD src1_sel:WORD_1
	v_fma_f16 v7, v5, v0, v7
	v_mul_f16_sdwa v5, v5, v0 dst_sel:DWORD dst_unused:UNUSED_PAD src0_sel:DWORD src1_sel:WORD_1
	v_cvt_f32_f16_e32 v7, v7
	v_fma_f16 v0, v0, v1, -v5
	v_cvt_f32_f16_e32 v5, v0
	v_cvt_f64_f32_e32 v[0:1], v7
	v_cvt_f64_f32_e32 v[7:8], v5
	v_mul_f64 v[11:12], v[0:1], s[12:13]
	v_add_co_u32_e32 v0, vcc, s16, v27
	v_mul_f64 v[7:8], v[7:8], s[12:13]
	v_addc_co_u32_e32 v1, vcc, 0, v28, vcc
	v_add_co_u32_e32 v9, vcc, s6, v9
	v_addc_co_u32_e32 v10, vcc, v10, v3, vcc
	v_and_or_b32 v5, v12, s15, v11
	v_and_or_b32 v7, v8, s15, v7
	v_cmp_ne_u32_e32 vcc, 0, v5
	v_lshrrev_b32_e32 v11, 8, v12
	v_bfe_u32 v13, v12, 20, 11
	v_cndmask_b32_e64 v5, 0, 1, vcc
	v_cmp_ne_u32_e32 vcc, 0, v7
	v_lshrrev_b32_e32 v14, 8, v8
	v_bfe_u32 v15, v8, 20, 11
	v_sub_u32_e32 v16, 0x3f1, v13
	v_cndmask_b32_e64 v7, 0, 1, vcc
	v_and_or_b32 v5, v11, s14, v5
	v_sub_u32_e32 v17, 0x3f1, v15
	v_med3_i32 v11, v16, 0, 13
	v_and_or_b32 v7, v14, s14, v7
	v_or_b32_e32 v16, 0x1000, v5
	v_add_u32_e32 v13, 0xfffffc10, v13
	v_med3_i32 v14, v17, 0, 13
	v_cmp_ne_u32_e32 vcc, 0, v5
	v_or_b32_e32 v18, 0x1000, v7
	v_lshrrev_b32_e32 v20, v11, v16
	v_add_u32_e32 v15, 0xfffffc10, v15
	v_lshl_or_b32 v17, v13, 12, v5
	v_cndmask_b32_e64 v5, 0, 1, vcc
	v_cmp_ne_u32_e32 vcc, 0, v7
	v_lshrrev_b32_e32 v21, v14, v18
	v_lshlrev_b32_e32 v11, v11, v20
	v_lshl_or_b32 v19, v15, 12, v7
	v_cndmask_b32_e64 v7, 0, 1, vcc
	v_lshlrev_b32_e32 v14, v14, v21
	v_cmp_ne_u32_e32 vcc, v11, v16
	v_cndmask_b32_e64 v11, 0, 1, vcc
	v_cmp_ne_u32_e32 vcc, v14, v18
	v_cndmask_b32_e64 v14, 0, 1, vcc
	v_or_b32_e32 v11, v20, v11
	v_cmp_gt_i32_e32 vcc, 1, v13
	v_cndmask_b32_e32 v11, v17, v11, vcc
	v_or_b32_e32 v14, v21, v14
	v_cmp_gt_i32_e32 vcc, 1, v15
	v_and_b32_e32 v16, 7, v11
	v_cndmask_b32_e32 v14, v19, v14, vcc
	v_cmp_lt_i32_e32 vcc, 5, v16
	v_cmp_eq_u32_e64 s[0:1], 3, v16
	v_lshrrev_b32_e32 v11, 2, v11
	v_and_b32_e32 v17, 7, v14
	s_or_b64 vcc, s[0:1], vcc
	v_cmp_lt_i32_e64 s[2:3], 5, v17
	v_cmp_eq_u32_e64 s[4:5], 3, v17
	v_addc_co_u32_e32 v11, vcc, 0, v11, vcc
	v_lshrrev_b32_e32 v14, 2, v14
	s_or_b64 vcc, s[4:5], s[2:3]
	v_addc_co_u32_e32 v14, vcc, 0, v14, vcc
	v_cmp_gt_i32_e32 vcc, 31, v13
	v_cndmask_b32_e32 v11, v2, v11, vcc
	v_cmp_gt_i32_e32 vcc, 31, v15
	v_lshl_or_b32 v5, v5, 9, v2
	v_cndmask_b32_e32 v14, v2, v14, vcc
	v_cmp_eq_u32_e32 vcc, s10, v13
	v_lshrrev_b32_e32 v12, 16, v12
	v_lshl_or_b32 v7, v7, 9, v2
	v_cndmask_b32_e32 v5, v11, v5, vcc
	v_cmp_eq_u32_e32 vcc, s10, v15
	v_lshrrev_b32_e32 v8, 16, v8
	v_cndmask_b32_e32 v7, v14, v7, vcc
	v_and_or_b32 v5, v12, s11, v5
	v_and_or_b32 v7, v8, s11, v7
	v_and_b32_e32 v5, 0xffff, v5
	v_lshl_or_b32 v5, v7, 16, v5
	global_store_dword v[9:10], v5, off
	global_load_dword v5, v[0:1], off offset:224
	v_lshrrev_b32_e32 v7, 16, v6
	v_add_co_u32_e32 v9, vcc, s6, v9
	v_addc_co_u32_e32 v10, vcc, v10, v3, vcc
	s_waitcnt vmcnt(0)
	v_mul_f16_sdwa v8, v7, v5 dst_sel:DWORD dst_unused:UNUSED_PAD src0_sel:DWORD src1_sel:WORD_1
	v_fma_f16 v8, v6, v5, v8
	v_mul_f16_sdwa v6, v6, v5 dst_sel:DWORD dst_unused:UNUSED_PAD src0_sel:DWORD src1_sel:WORD_1
	v_cvt_f32_f16_e32 v8, v8
	v_fma_f16 v5, v5, v7, -v6
	v_cvt_f32_f16_e32 v7, v5
	v_cvt_f64_f32_e32 v[5:6], v8
	v_cvt_f64_f32_e32 v[7:8], v7
	v_mul_f64 v[5:6], v[5:6], s[12:13]
	v_mul_f64 v[7:8], v[7:8], s[12:13]
	v_and_or_b32 v5, v6, s15, v5
	v_cmp_ne_u32_e32 vcc, 0, v5
	v_and_or_b32 v7, v8, s15, v7
	v_lshrrev_b32_e32 v11, 8, v6
	v_bfe_u32 v12, v6, 20, 11
	v_cndmask_b32_e64 v5, 0, 1, vcc
	v_cmp_ne_u32_e32 vcc, 0, v7
	v_lshrrev_b32_e32 v13, 8, v8
	v_bfe_u32 v14, v8, 20, 11
	v_sub_u32_e32 v15, 0x3f1, v12
	v_cndmask_b32_e64 v7, 0, 1, vcc
	v_and_or_b32 v5, v11, s14, v5
	v_sub_u32_e32 v16, 0x3f1, v14
	v_med3_i32 v11, v15, 0, 13
	v_and_or_b32 v7, v13, s14, v7
	v_or_b32_e32 v15, 0x1000, v5
	v_add_u32_e32 v12, 0xfffffc10, v12
	v_med3_i32 v13, v16, 0, 13
	v_cmp_ne_u32_e32 vcc, 0, v5
	v_or_b32_e32 v17, 0x1000, v7
	v_lshrrev_b32_e32 v19, v11, v15
	v_add_u32_e32 v14, 0xfffffc10, v14
	v_lshl_or_b32 v16, v12, 12, v5
	v_cndmask_b32_e64 v5, 0, 1, vcc
	v_cmp_ne_u32_e32 vcc, 0, v7
	v_lshrrev_b32_e32 v20, v13, v17
	v_lshlrev_b32_e32 v11, v11, v19
	v_lshl_or_b32 v18, v14, 12, v7
	v_cndmask_b32_e64 v7, 0, 1, vcc
	v_lshlrev_b32_e32 v13, v13, v20
	v_cmp_ne_u32_e32 vcc, v11, v15
	v_cndmask_b32_e64 v11, 0, 1, vcc
	v_cmp_ne_u32_e32 vcc, v13, v17
	v_cndmask_b32_e64 v13, 0, 1, vcc
	v_or_b32_e32 v11, v19, v11
	v_cmp_gt_i32_e32 vcc, 1, v12
	v_cndmask_b32_e32 v11, v16, v11, vcc
	v_or_b32_e32 v13, v20, v13
	v_cmp_gt_i32_e32 vcc, 1, v14
	v_and_b32_e32 v15, 7, v11
	v_cndmask_b32_e32 v13, v18, v13, vcc
	v_cmp_lt_i32_e32 vcc, 5, v15
	v_cmp_eq_u32_e64 s[0:1], 3, v15
	v_lshrrev_b32_e32 v11, 2, v11
	v_and_b32_e32 v16, 7, v13
	s_or_b64 vcc, s[0:1], vcc
	v_cmp_lt_i32_e64 s[2:3], 5, v16
	v_cmp_eq_u32_e64 s[4:5], 3, v16
	v_addc_co_u32_e32 v11, vcc, 0, v11, vcc
	v_lshrrev_b32_e32 v13, 2, v13
	s_or_b64 vcc, s[4:5], s[2:3]
	v_addc_co_u32_e32 v13, vcc, 0, v13, vcc
	v_cmp_gt_i32_e32 vcc, 31, v12
	v_cndmask_b32_e32 v11, v2, v11, vcc
	v_cmp_gt_i32_e32 vcc, 31, v14
	v_lshl_or_b32 v5, v5, 9, v2
	v_cndmask_b32_e32 v13, v2, v13, vcc
	v_cmp_eq_u32_e32 vcc, s10, v12
	v_lshrrev_b32_e32 v6, 16, v6
	v_lshl_or_b32 v7, v7, 9, v2
	v_cndmask_b32_e32 v5, v11, v5, vcc
	v_cmp_eq_u32_e32 vcc, s10, v14
	v_lshrrev_b32_e32 v8, 16, v8
	v_cndmask_b32_e32 v7, v13, v7, vcc
	v_and_or_b32 v5, v6, s11, v5
	v_and_or_b32 v6, v8, s11, v7
	v_and_b32_e32 v5, 0xffff, v5
	v_lshl_or_b32 v5, v6, 16, v5
	global_store_dword v[9:10], v5, off
	global_load_dword v7, v[0:1], off offset:992
	ds_read2st64_b32 v[5:6], v4 offset0:19 offset1:22
	v_add_co_u32_e32 v9, vcc, s6, v9
	v_addc_co_u32_e32 v10, vcc, v10, v3, vcc
	s_waitcnt lgkmcnt(0)
	v_lshrrev_b32_e32 v8, 16, v5
	s_waitcnt vmcnt(0)
	v_mul_f16_sdwa v11, v8, v7 dst_sel:DWORD dst_unused:UNUSED_PAD src0_sel:DWORD src1_sel:WORD_1
	v_fma_f16 v11, v5, v7, v11
	v_mul_f16_sdwa v5, v5, v7 dst_sel:DWORD dst_unused:UNUSED_PAD src0_sel:DWORD src1_sel:WORD_1
	v_cvt_f32_f16_e32 v11, v11
	v_fma_f16 v5, v7, v8, -v5
	v_cvt_f32_f16_e32 v5, v5
	v_cvt_f64_f32_e32 v[7:8], v11
	v_cvt_f64_f32_e32 v[11:12], v5
	v_mul_f64 v[7:8], v[7:8], s[12:13]
	v_mul_f64 v[11:12], v[11:12], s[12:13]
	v_and_or_b32 v5, v8, s15, v7
	v_cmp_ne_u32_e32 vcc, 0, v5
	v_and_or_b32 v11, v12, s15, v11
	v_lshrrev_b32_e32 v7, 8, v8
	v_bfe_u32 v13, v8, 20, 11
	v_cndmask_b32_e64 v5, 0, 1, vcc
	v_cmp_ne_u32_e32 vcc, 0, v11
	v_lshrrev_b32_e32 v14, 8, v12
	v_bfe_u32 v15, v12, 20, 11
	v_sub_u32_e32 v16, 0x3f1, v13
	v_cndmask_b32_e64 v11, 0, 1, vcc
	v_and_or_b32 v5, v7, s14, v5
	v_sub_u32_e32 v17, 0x3f1, v15
	v_med3_i32 v7, v16, 0, 13
	v_and_or_b32 v11, v14, s14, v11
	v_or_b32_e32 v16, 0x1000, v5
	v_add_u32_e32 v13, 0xfffffc10, v13
	v_med3_i32 v14, v17, 0, 13
	v_cmp_ne_u32_e32 vcc, 0, v5
	v_or_b32_e32 v18, 0x1000, v11
	v_lshrrev_b32_e32 v20, v7, v16
	v_add_u32_e32 v15, 0xfffffc10, v15
	v_lshl_or_b32 v17, v13, 12, v5
	v_cndmask_b32_e64 v5, 0, 1, vcc
	v_cmp_ne_u32_e32 vcc, 0, v11
	v_lshrrev_b32_e32 v21, v14, v18
	v_lshlrev_b32_e32 v7, v7, v20
	v_lshl_or_b32 v19, v15, 12, v11
	v_cndmask_b32_e64 v11, 0, 1, vcc
	v_lshlrev_b32_e32 v14, v14, v21
	v_cmp_ne_u32_e32 vcc, v7, v16
	v_cndmask_b32_e64 v7, 0, 1, vcc
	v_cmp_ne_u32_e32 vcc, v14, v18
	v_cndmask_b32_e64 v14, 0, 1, vcc
	v_or_b32_e32 v7, v20, v7
	v_cmp_gt_i32_e32 vcc, 1, v13
	v_cndmask_b32_e32 v7, v17, v7, vcc
	v_or_b32_e32 v14, v21, v14
	v_cmp_gt_i32_e32 vcc, 1, v15
	v_and_b32_e32 v16, 7, v7
	v_cndmask_b32_e32 v14, v19, v14, vcc
	v_cmp_lt_i32_e32 vcc, 5, v16
	v_cmp_eq_u32_e64 s[0:1], 3, v16
	v_lshrrev_b32_e32 v7, 2, v7
	v_and_b32_e32 v17, 7, v14
	s_or_b64 vcc, s[0:1], vcc
	v_cmp_lt_i32_e64 s[2:3], 5, v17
	v_cmp_eq_u32_e64 s[4:5], 3, v17
	v_addc_co_u32_e32 v7, vcc, 0, v7, vcc
	v_lshrrev_b32_e32 v14, 2, v14
	s_or_b64 vcc, s[4:5], s[2:3]
	v_addc_co_u32_e32 v14, vcc, 0, v14, vcc
	v_cmp_gt_i32_e32 vcc, 31, v13
	v_cndmask_b32_e32 v7, v2, v7, vcc
	v_cmp_gt_i32_e32 vcc, 31, v15
	v_lshl_or_b32 v5, v5, 9, v2
	v_cndmask_b32_e32 v14, v2, v14, vcc
	v_cmp_eq_u32_e32 vcc, s10, v13
	v_lshrrev_b32_e32 v8, 16, v8
	v_lshl_or_b32 v11, v11, 9, v2
	v_cndmask_b32_e32 v5, v7, v5, vcc
	v_cmp_eq_u32_e32 vcc, s10, v15
	v_lshrrev_b32_e32 v12, 16, v12
	v_cndmask_b32_e32 v7, v14, v11, vcc
	v_and_or_b32 v5, v8, s11, v5
	v_and_or_b32 v7, v12, s11, v7
	v_and_b32_e32 v5, 0xffff, v5
	v_lshl_or_b32 v5, v7, 16, v5
	global_store_dword v[9:10], v5, off
	global_load_dword v5, v[0:1], off offset:1760
	v_lshrrev_b32_e32 v7, 16, v6
	v_add_co_u32_e32 v9, vcc, s6, v9
	v_addc_co_u32_e32 v10, vcc, v10, v3, vcc
	s_waitcnt vmcnt(0)
	v_mul_f16_sdwa v8, v7, v5 dst_sel:DWORD dst_unused:UNUSED_PAD src0_sel:DWORD src1_sel:WORD_1
	v_fma_f16 v8, v6, v5, v8
	v_mul_f16_sdwa v6, v6, v5 dst_sel:DWORD dst_unused:UNUSED_PAD src0_sel:DWORD src1_sel:WORD_1
	v_cvt_f32_f16_e32 v8, v8
	v_fma_f16 v5, v5, v7, -v6
	v_cvt_f32_f16_e32 v7, v5
	v_cvt_f64_f32_e32 v[5:6], v8
	v_cvt_f64_f32_e32 v[7:8], v7
	v_mul_f64 v[5:6], v[5:6], s[12:13]
	v_mul_f64 v[7:8], v[7:8], s[12:13]
	v_and_or_b32 v5, v6, s15, v5
	v_cmp_ne_u32_e32 vcc, 0, v5
	v_and_or_b32 v7, v8, s15, v7
	v_lshrrev_b32_e32 v11, 8, v6
	v_bfe_u32 v12, v6, 20, 11
	v_cndmask_b32_e64 v5, 0, 1, vcc
	v_cmp_ne_u32_e32 vcc, 0, v7
	v_lshrrev_b32_e32 v13, 8, v8
	v_bfe_u32 v14, v8, 20, 11
	v_sub_u32_e32 v15, 0x3f1, v12
	v_cndmask_b32_e64 v7, 0, 1, vcc
	v_and_or_b32 v5, v11, s14, v5
	v_sub_u32_e32 v16, 0x3f1, v14
	v_med3_i32 v11, v15, 0, 13
	v_and_or_b32 v7, v13, s14, v7
	v_or_b32_e32 v15, 0x1000, v5
	v_add_u32_e32 v12, 0xfffffc10, v12
	v_med3_i32 v13, v16, 0, 13
	v_cmp_ne_u32_e32 vcc, 0, v5
	v_or_b32_e32 v17, 0x1000, v7
	v_lshrrev_b32_e32 v19, v11, v15
	v_add_u32_e32 v14, 0xfffffc10, v14
	v_lshl_or_b32 v16, v12, 12, v5
	v_cndmask_b32_e64 v5, 0, 1, vcc
	v_cmp_ne_u32_e32 vcc, 0, v7
	v_lshrrev_b32_e32 v20, v13, v17
	v_lshlrev_b32_e32 v11, v11, v19
	v_lshl_or_b32 v18, v14, 12, v7
	v_cndmask_b32_e64 v7, 0, 1, vcc
	v_lshlrev_b32_e32 v13, v13, v20
	v_cmp_ne_u32_e32 vcc, v11, v15
	v_cndmask_b32_e64 v11, 0, 1, vcc
	v_cmp_ne_u32_e32 vcc, v13, v17
	v_cndmask_b32_e64 v13, 0, 1, vcc
	v_or_b32_e32 v11, v19, v11
	v_cmp_gt_i32_e32 vcc, 1, v12
	v_cndmask_b32_e32 v11, v16, v11, vcc
	v_or_b32_e32 v13, v20, v13
	v_cmp_gt_i32_e32 vcc, 1, v14
	v_and_b32_e32 v15, 7, v11
	v_cndmask_b32_e32 v13, v18, v13, vcc
	v_cmp_lt_i32_e32 vcc, 5, v15
	v_cmp_eq_u32_e64 s[0:1], 3, v15
	v_lshrrev_b32_e32 v11, 2, v11
	v_and_b32_e32 v16, 7, v13
	s_or_b64 vcc, s[0:1], vcc
	v_cmp_lt_i32_e64 s[2:3], 5, v16
	v_cmp_eq_u32_e64 s[4:5], 3, v16
	v_addc_co_u32_e32 v11, vcc, 0, v11, vcc
	v_lshrrev_b32_e32 v13, 2, v13
	s_or_b64 vcc, s[4:5], s[2:3]
	v_addc_co_u32_e32 v13, vcc, 0, v13, vcc
	v_cmp_gt_i32_e32 vcc, 31, v12
	v_cndmask_b32_e32 v11, v2, v11, vcc
	v_cmp_gt_i32_e32 vcc, 31, v14
	v_lshl_or_b32 v5, v5, 9, v2
	v_cndmask_b32_e32 v13, v2, v13, vcc
	v_cmp_eq_u32_e32 vcc, s10, v12
	v_lshrrev_b32_e32 v6, 16, v6
	v_lshl_or_b32 v7, v7, 9, v2
	v_cndmask_b32_e32 v5, v11, v5, vcc
	v_cmp_eq_u32_e32 vcc, s10, v14
	v_lshrrev_b32_e32 v8, 16, v8
	v_cndmask_b32_e32 v7, v13, v7, vcc
	v_and_or_b32 v5, v6, s11, v5
	v_and_or_b32 v6, v8, s11, v7
	v_and_b32_e32 v5, 0xffff, v5
	v_lshl_or_b32 v5, v6, 16, v5
	global_store_dword v[9:10], v5, off
	global_load_dword v6, v[0:1], off offset:2528
	ds_read2st64_b32 v[4:5], v4 offset0:25 offset1:28
	s_waitcnt lgkmcnt(0)
	v_lshrrev_b32_e32 v7, 16, v4
	s_waitcnt vmcnt(0)
	v_mul_f16_sdwa v8, v7, v6 dst_sel:DWORD dst_unused:UNUSED_PAD src0_sel:DWORD src1_sel:WORD_1
	v_fma_f16 v8, v4, v6, v8
	v_mul_f16_sdwa v4, v4, v6 dst_sel:DWORD dst_unused:UNUSED_PAD src0_sel:DWORD src1_sel:WORD_1
	v_cvt_f32_f16_e32 v8, v8
	v_fma_f16 v4, v6, v7, -v4
	v_cvt_f32_f16_e32 v4, v4
	v_cvt_f64_f32_e32 v[6:7], v8
	v_add_co_u32_e32 v8, vcc, s6, v9
	v_cvt_f64_f32_e32 v[11:12], v4
	v_mul_f64 v[6:7], v[6:7], s[12:13]
	v_addc_co_u32_e32 v9, vcc, v10, v3, vcc
	v_mul_f64 v[11:12], v[11:12], s[12:13]
	v_and_or_b32 v4, v7, s15, v6
	v_cmp_ne_u32_e32 vcc, 0, v4
	v_lshrrev_b32_e32 v6, 8, v7
	v_and_or_b32 v11, v12, s15, v11
	v_bfe_u32 v10, v7, 20, 11
	v_cndmask_b32_e64 v4, 0, 1, vcc
	v_cmp_ne_u32_e32 vcc, 0, v11
	v_lshrrev_b32_e32 v13, 8, v12
	v_bfe_u32 v14, v12, 20, 11
	v_sub_u32_e32 v15, 0x3f1, v10
	v_cndmask_b32_e64 v11, 0, 1, vcc
	v_and_or_b32 v4, v6, s14, v4
	v_sub_u32_e32 v16, 0x3f1, v14
	v_med3_i32 v6, v15, 0, 13
	v_and_or_b32 v11, v13, s14, v11
	v_or_b32_e32 v15, 0x1000, v4
	v_add_u32_e32 v10, 0xfffffc10, v10
	v_med3_i32 v13, v16, 0, 13
	v_cmp_ne_u32_e32 vcc, 0, v4
	v_or_b32_e32 v17, 0x1000, v11
	v_lshrrev_b32_e32 v19, v6, v15
	v_add_u32_e32 v14, 0xfffffc10, v14
	v_lshl_or_b32 v16, v10, 12, v4
	v_cndmask_b32_e64 v4, 0, 1, vcc
	v_cmp_ne_u32_e32 vcc, 0, v11
	v_lshrrev_b32_e32 v20, v13, v17
	v_lshlrev_b32_e32 v6, v6, v19
	v_lshl_or_b32 v18, v14, 12, v11
	v_cndmask_b32_e64 v11, 0, 1, vcc
	v_lshlrev_b32_e32 v13, v13, v20
	v_cmp_ne_u32_e32 vcc, v6, v15
	v_cndmask_b32_e64 v6, 0, 1, vcc
	v_cmp_ne_u32_e32 vcc, v13, v17
	v_cndmask_b32_e64 v13, 0, 1, vcc
	v_or_b32_e32 v6, v19, v6
	v_cmp_gt_i32_e32 vcc, 1, v10
	v_cndmask_b32_e32 v6, v16, v6, vcc
	v_or_b32_e32 v13, v20, v13
	v_cmp_gt_i32_e32 vcc, 1, v14
	v_and_b32_e32 v15, 7, v6
	v_cndmask_b32_e32 v13, v18, v13, vcc
	v_cmp_lt_i32_e32 vcc, 5, v15
	v_cmp_eq_u32_e64 s[0:1], 3, v15
	v_lshrrev_b32_e32 v6, 2, v6
	v_and_b32_e32 v16, 7, v13
	s_or_b64 vcc, s[0:1], vcc
	v_cmp_lt_i32_e64 s[2:3], 5, v16
	v_cmp_eq_u32_e64 s[4:5], 3, v16
	v_addc_co_u32_e32 v6, vcc, 0, v6, vcc
	v_lshrrev_b32_e32 v13, 2, v13
	s_or_b64 vcc, s[4:5], s[2:3]
	v_addc_co_u32_e32 v13, vcc, 0, v13, vcc
	v_cmp_gt_i32_e32 vcc, 31, v10
	v_cndmask_b32_e32 v6, v2, v6, vcc
	v_cmp_gt_i32_e32 vcc, 31, v14
	v_lshl_or_b32 v4, v4, 9, v2
	v_cndmask_b32_e32 v13, v2, v13, vcc
	v_cmp_eq_u32_e32 vcc, s10, v10
	v_lshrrev_b32_e32 v7, 16, v7
	v_lshl_or_b32 v11, v11, 9, v2
	v_cndmask_b32_e32 v4, v6, v4, vcc
	v_cmp_eq_u32_e32 vcc, s10, v14
	v_lshrrev_b32_e32 v12, 16, v12
	v_cndmask_b32_e32 v6, v13, v11, vcc
	v_and_or_b32 v4, v7, s11, v4
	v_and_or_b32 v6, v12, s11, v6
	v_and_b32_e32 v4, 0xffff, v4
	v_lshl_or_b32 v4, v6, 16, v4
	global_store_dword v[8:9], v4, off
	global_load_dword v0, v[0:1], off offset:3296
	v_lshrrev_b32_e32 v1, 16, v5
	s_waitcnt vmcnt(0)
	v_mul_f16_sdwa v4, v1, v0 dst_sel:DWORD dst_unused:UNUSED_PAD src0_sel:DWORD src1_sel:WORD_1
	v_fma_f16 v4, v5, v0, v4
	v_mul_f16_sdwa v5, v5, v0 dst_sel:DWORD dst_unused:UNUSED_PAD src0_sel:DWORD src1_sel:WORD_1
	v_cvt_f32_f16_e32 v4, v4
	v_fma_f16 v0, v0, v1, -v5
	v_cvt_f32_f16_e32 v5, v0
	v_cvt_f64_f32_e32 v[0:1], v4
	v_cvt_f64_f32_e32 v[4:5], v5
	v_mul_f64 v[0:1], v[0:1], s[12:13]
	v_mul_f64 v[4:5], v[4:5], s[12:13]
	v_and_or_b32 v0, v1, s15, v0
	v_cmp_ne_u32_e32 vcc, 0, v0
	v_and_or_b32 v4, v5, s15, v4
	v_lshrrev_b32_e32 v6, 8, v1
	v_bfe_u32 v7, v1, 20, 11
	v_cndmask_b32_e64 v0, 0, 1, vcc
	v_cmp_ne_u32_e32 vcc, 0, v4
	v_lshrrev_b32_e32 v10, 8, v5
	v_bfe_u32 v11, v5, 20, 11
	v_sub_u32_e32 v12, 0x3f1, v7
	v_cndmask_b32_e64 v4, 0, 1, vcc
	v_and_or_b32 v0, v6, s14, v0
	v_sub_u32_e32 v13, 0x3f1, v11
	v_med3_i32 v6, v12, 0, 13
	v_and_or_b32 v4, v10, s14, v4
	v_or_b32_e32 v12, 0x1000, v0
	v_add_u32_e32 v7, 0xfffffc10, v7
	v_med3_i32 v10, v13, 0, 13
	v_cmp_ne_u32_e32 vcc, 0, v0
	v_or_b32_e32 v14, 0x1000, v4
	v_lshrrev_b32_e32 v16, v6, v12
	v_add_u32_e32 v11, 0xfffffc10, v11
	v_lshl_or_b32 v13, v7, 12, v0
	v_cndmask_b32_e64 v0, 0, 1, vcc
	v_cmp_ne_u32_e32 vcc, 0, v4
	v_lshrrev_b32_e32 v17, v10, v14
	v_lshlrev_b32_e32 v6, v6, v16
	v_lshl_or_b32 v15, v11, 12, v4
	v_cndmask_b32_e64 v4, 0, 1, vcc
	v_lshlrev_b32_e32 v10, v10, v17
	v_cmp_ne_u32_e32 vcc, v6, v12
	v_cndmask_b32_e64 v6, 0, 1, vcc
	v_cmp_ne_u32_e32 vcc, v10, v14
	v_cndmask_b32_e64 v10, 0, 1, vcc
	v_or_b32_e32 v6, v16, v6
	v_cmp_gt_i32_e32 vcc, 1, v7
	v_cndmask_b32_e32 v6, v13, v6, vcc
	v_or_b32_e32 v10, v17, v10
	v_cmp_gt_i32_e32 vcc, 1, v11
	v_and_b32_e32 v12, 7, v6
	v_cndmask_b32_e32 v10, v15, v10, vcc
	v_cmp_lt_i32_e32 vcc, 5, v12
	v_cmp_eq_u32_e64 s[0:1], 3, v12
	v_lshrrev_b32_e32 v6, 2, v6
	v_and_b32_e32 v13, 7, v10
	s_or_b64 vcc, s[0:1], vcc
	v_cmp_lt_i32_e64 s[2:3], 5, v13
	v_cmp_eq_u32_e64 s[4:5], 3, v13
	v_addc_co_u32_e32 v6, vcc, 0, v6, vcc
	v_lshrrev_b32_e32 v10, 2, v10
	s_or_b64 vcc, s[4:5], s[2:3]
	v_addc_co_u32_e32 v10, vcc, 0, v10, vcc
	v_cmp_gt_i32_e32 vcc, 31, v7
	v_cndmask_b32_e32 v6, v2, v6, vcc
	v_cmp_gt_i32_e32 vcc, 31, v11
	v_lshl_or_b32 v0, v0, 9, v2
	v_lshl_or_b32 v4, v4, 9, v2
	v_cndmask_b32_e32 v2, v2, v10, vcc
	v_cmp_eq_u32_e32 vcc, s10, v7
	v_lshrrev_b32_e32 v1, 16, v1
	v_cndmask_b32_e32 v0, v6, v0, vcc
	v_cmp_eq_u32_e32 vcc, s10, v11
	v_lshrrev_b32_e32 v5, 16, v5
	v_cndmask_b32_e32 v2, v2, v4, vcc
	v_and_or_b32 v0, v1, s11, v0
	v_and_or_b32 v1, v5, s11, v2
	v_and_b32_e32 v0, 0xffff, v0
	v_lshl_or_b32 v2, v1, 16, v0
	v_add_co_u32_e32 v0, vcc, s6, v8
	v_addc_co_u32_e32 v1, vcc, v9, v3, vcc
	global_store_dword v[0:1], v2, off
.LBB0_23:
	s_endpgm
	.section	.rodata,"a",@progbits
	.p2align	6, 0x0
	.amdhsa_kernel bluestein_single_fwd_len1920_dim1_half_op_CI_CI
		.amdhsa_group_segment_fixed_size 15360
		.amdhsa_private_segment_fixed_size 0
		.amdhsa_kernarg_size 104
		.amdhsa_user_sgpr_count 6
		.amdhsa_user_sgpr_private_segment_buffer 1
		.amdhsa_user_sgpr_dispatch_ptr 0
		.amdhsa_user_sgpr_queue_ptr 0
		.amdhsa_user_sgpr_kernarg_segment_ptr 1
		.amdhsa_user_sgpr_dispatch_id 0
		.amdhsa_user_sgpr_flat_scratch_init 0
		.amdhsa_user_sgpr_private_segment_size 0
		.amdhsa_uses_dynamic_stack 0
		.amdhsa_system_sgpr_private_segment_wavefront_offset 0
		.amdhsa_system_sgpr_workgroup_id_x 1
		.amdhsa_system_sgpr_workgroup_id_y 0
		.amdhsa_system_sgpr_workgroup_id_z 0
		.amdhsa_system_sgpr_workgroup_info 0
		.amdhsa_system_vgpr_workitem_id 0
		.amdhsa_next_free_vgpr 125
		.amdhsa_next_free_sgpr 20
		.amdhsa_reserve_vcc 1
		.amdhsa_reserve_flat_scratch 0
		.amdhsa_float_round_mode_32 0
		.amdhsa_float_round_mode_16_64 0
		.amdhsa_float_denorm_mode_32 3
		.amdhsa_float_denorm_mode_16_64 3
		.amdhsa_dx10_clamp 1
		.amdhsa_ieee_mode 1
		.amdhsa_fp16_overflow 0
		.amdhsa_exception_fp_ieee_invalid_op 0
		.amdhsa_exception_fp_denorm_src 0
		.amdhsa_exception_fp_ieee_div_zero 0
		.amdhsa_exception_fp_ieee_overflow 0
		.amdhsa_exception_fp_ieee_underflow 0
		.amdhsa_exception_fp_ieee_inexact 0
		.amdhsa_exception_int_div_zero 0
	.end_amdhsa_kernel
	.text
.Lfunc_end0:
	.size	bluestein_single_fwd_len1920_dim1_half_op_CI_CI, .Lfunc_end0-bluestein_single_fwd_len1920_dim1_half_op_CI_CI
                                        ; -- End function
	.section	.AMDGPU.csdata,"",@progbits
; Kernel info:
; codeLenInByte = 28020
; NumSgprs: 24
; NumVgprs: 125
; ScratchSize: 0
; MemoryBound: 0
; FloatMode: 240
; IeeeMode: 1
; LDSByteSize: 15360 bytes/workgroup (compile time only)
; SGPRBlocks: 2
; VGPRBlocks: 31
; NumSGPRsForWavesPerEU: 24
; NumVGPRsForWavesPerEU: 125
; Occupancy: 2
; WaveLimiterHint : 1
; COMPUTE_PGM_RSRC2:SCRATCH_EN: 0
; COMPUTE_PGM_RSRC2:USER_SGPR: 6
; COMPUTE_PGM_RSRC2:TRAP_HANDLER: 0
; COMPUTE_PGM_RSRC2:TGID_X_EN: 1
; COMPUTE_PGM_RSRC2:TGID_Y_EN: 0
; COMPUTE_PGM_RSRC2:TGID_Z_EN: 0
; COMPUTE_PGM_RSRC2:TIDIG_COMP_CNT: 0
	.type	__hip_cuid_98260b84008bf9ff,@object ; @__hip_cuid_98260b84008bf9ff
	.section	.bss,"aw",@nobits
	.globl	__hip_cuid_98260b84008bf9ff
__hip_cuid_98260b84008bf9ff:
	.byte	0                               ; 0x0
	.size	__hip_cuid_98260b84008bf9ff, 1

	.ident	"AMD clang version 19.0.0git (https://github.com/RadeonOpenCompute/llvm-project roc-6.4.0 25133 c7fe45cf4b819c5991fe208aaa96edf142730f1d)"
	.section	".note.GNU-stack","",@progbits
	.addrsig
	.addrsig_sym __hip_cuid_98260b84008bf9ff
	.amdgpu_metadata
---
amdhsa.kernels:
  - .args:
      - .actual_access:  read_only
        .address_space:  global
        .offset:         0
        .size:           8
        .value_kind:     global_buffer
      - .actual_access:  read_only
        .address_space:  global
        .offset:         8
        .size:           8
        .value_kind:     global_buffer
      - .actual_access:  read_only
        .address_space:  global
        .offset:         16
        .size:           8
        .value_kind:     global_buffer
      - .actual_access:  read_only
        .address_space:  global
        .offset:         24
        .size:           8
        .value_kind:     global_buffer
      - .actual_access:  read_only
        .address_space:  global
        .offset:         32
        .size:           8
        .value_kind:     global_buffer
      - .offset:         40
        .size:           8
        .value_kind:     by_value
      - .address_space:  global
        .offset:         48
        .size:           8
        .value_kind:     global_buffer
      - .address_space:  global
        .offset:         56
        .size:           8
        .value_kind:     global_buffer
      - .address_space:  global
        .offset:         64
        .size:           8
        .value_kind:     global_buffer
      - .address_space:  global
        .offset:         72
        .size:           8
        .value_kind:     global_buffer
      - .offset:         80
        .size:           4
        .value_kind:     by_value
      - .address_space:  global
        .offset:         88
        .size:           8
        .value_kind:     global_buffer
      - .address_space:  global
        .offset:         96
        .size:           8
        .value_kind:     global_buffer
    .group_segment_fixed_size: 15360
    .kernarg_segment_align: 8
    .kernarg_segment_size: 104
    .language:       OpenCL C
    .language_version:
      - 2
      - 0
    .max_flat_workgroup_size: 240
    .name:           bluestein_single_fwd_len1920_dim1_half_op_CI_CI
    .private_segment_fixed_size: 0
    .sgpr_count:     24
    .sgpr_spill_count: 0
    .symbol:         bluestein_single_fwd_len1920_dim1_half_op_CI_CI.kd
    .uniform_work_group_size: 1
    .uses_dynamic_stack: false
    .vgpr_count:     125
    .vgpr_spill_count: 0
    .wavefront_size: 64
amdhsa.target:   amdgcn-amd-amdhsa--gfx906
amdhsa.version:
  - 1
  - 2
...

	.end_amdgpu_metadata
